;; amdgpu-corpus repo=ROCm/rocFFT kind=compiled arch=gfx1100 opt=O3
	.text
	.amdgcn_target "amdgcn-amd-amdhsa--gfx1100"
	.amdhsa_code_object_version 6
	.protected	fft_rtc_back_len289_factors_17_17_wgs_119_tpt_17_dp_op_CI_CI_sbcc_twdbase8_3step_dirReg_intrinsicReadWrite ; -- Begin function fft_rtc_back_len289_factors_17_17_wgs_119_tpt_17_dp_op_CI_CI_sbcc_twdbase8_3step_dirReg_intrinsicReadWrite
	.globl	fft_rtc_back_len289_factors_17_17_wgs_119_tpt_17_dp_op_CI_CI_sbcc_twdbase8_3step_dirReg_intrinsicReadWrite
	.p2align	8
	.type	fft_rtc_back_len289_factors_17_17_wgs_119_tpt_17_dp_op_CI_CI_sbcc_twdbase8_3step_dirReg_intrinsicReadWrite,@function
fft_rtc_back_len289_factors_17_17_wgs_119_tpt_17_dp_op_CI_CI_sbcc_twdbase8_3step_dirReg_intrinsicReadWrite: ; @fft_rtc_back_len289_factors_17_17_wgs_119_tpt_17_dp_op_CI_CI_sbcc_twdbase8_3step_dirReg_intrinsicReadWrite
; %bb.0:
	s_clause 0x1
	s_load_b128 s[16:19], s[0:1], 0x18
	s_load_b64 s[24:25], s[0:1], 0x28
	v_mov_b32_e32 v2, v0
	s_mov_b32 s26, s15
	s_mov_b32 s27, 0
	s_mov_b64 s[20:21], 0
	s_waitcnt lgkmcnt(0)
	s_load_b64 s[22:23], s[16:17], 0x8
	s_waitcnt lgkmcnt(0)
	s_add_u32 s2, s22, -1
	s_addc_u32 s3, s23, -1
	s_add_u32 s4, 0, 0x92481000
	s_addc_u32 s5, 0, 0x64
	s_mul_hi_u32 s7, s4, -7
	s_add_i32 s5, s5, 0x249248c0
	s_sub_i32 s7, s7, s4
	s_mul_i32 s9, s5, -7
	s_mul_i32 s6, s4, -7
	s_add_i32 s7, s7, s9
	s_mul_hi_u32 s8, s4, s6
	s_mul_i32 s11, s4, s7
	s_mul_hi_u32 s9, s4, s7
	s_mul_hi_u32 s10, s5, s6
	s_mul_i32 s6, s5, s6
	s_add_u32 s8, s8, s11
	s_addc_u32 s9, 0, s9
	s_mul_hi_u32 s12, s5, s7
	s_add_u32 s6, s8, s6
	s_mul_i32 s7, s5, s7
	s_addc_u32 s6, s9, s10
	s_addc_u32 s8, s12, 0
	s_add_u32 s6, s6, s7
	s_delay_alu instid0(SALU_CYCLE_1) | instskip(SKIP_3) | instid1(VALU_DEP_1)
	v_add_co_u32 v0, s4, s4, s6
	s_addc_u32 s6, 0, s8
	s_cmp_lg_u32 s4, 0
	s_addc_u32 s4, s5, s6
	v_readfirstlane_b32 s5, v0
	s_mul_i32 s7, s2, s4
	s_mul_hi_u32 s6, s2, s4
	s_mul_hi_u32 s8, s3, s4
	s_mul_i32 s4, s3, s4
	s_mul_hi_u32 s9, s2, s5
	s_mul_hi_u32 s10, s3, s5
	s_mul_i32 s5, s3, s5
	s_add_u32 s7, s9, s7
	s_addc_u32 s6, 0, s6
	s_add_u32 s5, s7, s5
	s_addc_u32 s5, s6, s10
	s_addc_u32 s6, s8, 0
	s_add_u32 s4, s5, s4
	s_addc_u32 s5, 0, s6
	s_mul_i32 s7, s4, 7
	s_add_u32 s6, s4, 1
	v_sub_co_u32 v0, s2, s2, s7
	s_mul_hi_u32 s7, s4, 7
	s_addc_u32 s8, s5, 0
	s_mul_i32 s9, s5, 7
	s_delay_alu instid0(VALU_DEP_1)
	v_sub_co_u32 v1, s10, v0, 7
	s_add_u32 s11, s4, 2
	s_addc_u32 s12, s5, 0
	s_add_i32 s7, s7, s9
	s_cmp_lg_u32 s2, 0
	v_readfirstlane_b32 s2, v1
	s_subb_u32 s3, s3, s7
	s_cmp_lg_u32 s10, 0
	s_subb_u32 s7, s3, 0
	s_delay_alu instid0(VALU_DEP_1) | instskip(SKIP_4) | instid1(SALU_CYCLE_1)
	s_cmp_gt_u32 s2, 6
	s_cselect_b32 s2, -1, 0
	s_cmp_eq_u32 s7, 0
	v_readfirstlane_b32 s7, v0
	s_cselect_b32 s2, s2, -1
	s_cmp_lg_u32 s2, 0
	s_cselect_b32 s2, s11, s6
	s_cselect_b32 s6, s12, s8
	s_cmp_gt_u32 s7, 6
	s_cselect_b32 s7, -1, 0
	s_cmp_eq_u32 s3, 0
	s_cselect_b32 s3, s7, -1
	s_delay_alu instid0(SALU_CYCLE_1) | instskip(SKIP_4) | instid1(SALU_CYCLE_1)
	s_cmp_lg_u32 s3, 0
	s_cselect_b32 s2, s2, s4
	s_cselect_b32 s3, s6, s5
	s_add_u32 s28, s2, 1
	s_addc_u32 s29, s3, 0
	v_cmp_lt_u64_e64 s2, s[26:27], s[28:29]
	s_delay_alu instid0(VALU_DEP_1)
	s_and_b32 vcc_lo, exec_lo, s2
	s_cbranch_vccnz .LBB0_2
; %bb.1:
	v_cvt_f32_u32_e32 v0, s28
	s_sub_i32 s3, 0, s28
	s_mov_b32 s21, s27
	s_delay_alu instid0(VALU_DEP_1) | instskip(SKIP_2) | instid1(VALU_DEP_1)
	v_rcp_iflag_f32_e32 v0, v0
	s_waitcnt_depctr 0xfff
	v_mul_f32_e32 v0, 0x4f7ffffe, v0
	v_cvt_u32_f32_e32 v0, v0
	s_delay_alu instid0(VALU_DEP_1) | instskip(NEXT) | instid1(VALU_DEP_1)
	v_readfirstlane_b32 s2, v0
	s_mul_i32 s3, s3, s2
	s_delay_alu instid0(SALU_CYCLE_1) | instskip(NEXT) | instid1(SALU_CYCLE_1)
	s_mul_hi_u32 s3, s2, s3
	s_add_i32 s2, s2, s3
	s_delay_alu instid0(SALU_CYCLE_1) | instskip(NEXT) | instid1(SALU_CYCLE_1)
	s_mul_hi_u32 s2, s26, s2
	s_mul_i32 s3, s2, s28
	s_add_i32 s4, s2, 1
	s_sub_i32 s3, s26, s3
	s_delay_alu instid0(SALU_CYCLE_1)
	s_sub_i32 s5, s3, s28
	s_cmp_ge_u32 s3, s28
	s_cselect_b32 s2, s4, s2
	s_cselect_b32 s3, s5, s3
	s_add_i32 s4, s2, 1
	s_cmp_ge_u32 s3, s28
	s_cselect_b32 s20, s4, s2
.LBB0_2:
	s_load_b128 s[12:15], s[18:19], 0x0
	s_load_b128 s[4:7], s[24:25], 0x0
	s_clause 0x1
	s_load_b128 s[8:11], s[0:1], 0x8
	s_load_b64 s[38:39], s[0:1], 0x0
	s_mul_i32 s2, s20, s29
	s_mul_hi_u32 s3, s20, s28
	s_waitcnt lgkmcnt(0)
	s_mul_i32 s5, s20, s28
	s_add_i32 s3, s3, s2
	s_sub_u32 s33, s26, s5
	s_subb_u32 s2, 0, s3
	s_mul_hi_u32 s13, s33, 7
	s_mul_i32 s5, s2, 7
	s_load_b128 s[0:3], s[0:1], 0x60
	s_add_i32 s13, s13, s5
	s_mul_i32 s33, s33, 7
	s_mul_i32 s5, s14, s13
	s_mul_hi_u32 s30, s14, s33
	v_cmp_lt_u64_e64 s37, s[10:11], 3
	s_mul_i32 s34, s6, s13
	s_mul_hi_u32 s35, s6, s33
	s_mul_i32 s31, s15, s33
	s_mul_i32 s36, s7, s33
	s_add_i32 s5, s30, s5
	s_add_i32 s30, s35, s34
	;; [unrolled: 1-line block ×3, first 2 shown]
	s_mul_i32 s7, s14, s33
	s_add_i32 s47, s30, s36
	s_and_b32 vcc_lo, exec_lo, s37
	s_mul_i32 s5, s6, s33
	s_cbranch_vccnz .LBB0_12
; %bb.3:
	s_add_u32 s30, s24, 16
	s_addc_u32 s31, s25, 0
	s_add_u32 s34, s18, 16
	s_addc_u32 s35, s19, 0
	;; [unrolled: 2-line block ×3, first 2 shown]
	s_mov_b64 s[36:37], 2
	s_mov_b32 s40, 0
.LBB0_4:                                ; =>This Inner Loop Header: Depth=1
	s_load_b64 s[42:43], s[16:17], 0x0
	s_waitcnt lgkmcnt(0)
	s_or_b64 s[44:45], s[20:21], s[42:43]
	s_delay_alu instid0(SALU_CYCLE_1) | instskip(NEXT) | instid1(SALU_CYCLE_1)
	s_mov_b32 s41, s45
                                        ; implicit-def: $sgpr44_sgpr45
	s_cmp_lg_u64 s[40:41], 0
	s_mov_b32 s41, -1
	s_cbranch_scc0 .LBB0_6
; %bb.5:                                ;   in Loop: Header=BB0_4 Depth=1
	v_cvt_f32_u32_e32 v0, s42
	v_cvt_f32_u32_e32 v1, s43
	s_sub_u32 s45, 0, s42
	s_subb_u32 s48, 0, s43
	s_delay_alu instid0(VALU_DEP_1) | instskip(NEXT) | instid1(VALU_DEP_1)
	v_fmac_f32_e32 v0, 0x4f800000, v1
	v_rcp_f32_e32 v0, v0
	s_waitcnt_depctr 0xfff
	v_mul_f32_e32 v0, 0x5f7ffffc, v0
	s_delay_alu instid0(VALU_DEP_1) | instskip(NEXT) | instid1(VALU_DEP_1)
	v_mul_f32_e32 v1, 0x2f800000, v0
	v_trunc_f32_e32 v1, v1
	s_delay_alu instid0(VALU_DEP_1) | instskip(SKIP_1) | instid1(VALU_DEP_2)
	v_fmac_f32_e32 v0, 0xcf800000, v1
	v_cvt_u32_f32_e32 v1, v1
	v_cvt_u32_f32_e32 v0, v0
	s_delay_alu instid0(VALU_DEP_2) | instskip(NEXT) | instid1(VALU_DEP_2)
	v_readfirstlane_b32 s41, v1
	v_readfirstlane_b32 s44, v0
	s_delay_alu instid0(VALU_DEP_2) | instskip(NEXT) | instid1(VALU_DEP_1)
	s_mul_i32 s49, s45, s41
	s_mul_hi_u32 s51, s45, s44
	s_mul_i32 s50, s48, s44
	s_add_i32 s49, s51, s49
	s_mul_i32 s52, s45, s44
	s_add_i32 s49, s49, s50
	s_mul_hi_u32 s51, s44, s52
	s_mul_hi_u32 s53, s41, s52
	s_mul_i32 s50, s41, s52
	s_mul_hi_u32 s52, s44, s49
	s_mul_i32 s44, s44, s49
	s_mul_hi_u32 s54, s41, s49
	s_add_u32 s44, s51, s44
	s_addc_u32 s51, 0, s52
	s_add_u32 s44, s44, s50
	s_mul_i32 s49, s41, s49
	s_addc_u32 s44, s51, s53
	s_addc_u32 s50, s54, 0
	s_add_u32 s44, s44, s49
	s_addc_u32 s49, 0, s50
	v_add_co_u32 v0, s44, v0, s44
	s_delay_alu instid0(VALU_DEP_1) | instskip(SKIP_1) | instid1(VALU_DEP_1)
	s_cmp_lg_u32 s44, 0
	s_addc_u32 s41, s41, s49
	v_readfirstlane_b32 s44, v0
	s_mul_i32 s49, s45, s41
	s_delay_alu instid0(VALU_DEP_1)
	s_mul_hi_u32 s50, s45, s44
	s_mul_i32 s48, s48, s44
	s_add_i32 s49, s50, s49
	s_mul_i32 s45, s45, s44
	s_add_i32 s49, s49, s48
	s_mul_hi_u32 s50, s41, s45
	s_mul_i32 s51, s41, s45
	s_mul_hi_u32 s45, s44, s45
	s_mul_hi_u32 s52, s44, s49
	s_mul_i32 s44, s44, s49
	s_mul_hi_u32 s48, s41, s49
	s_add_u32 s44, s45, s44
	s_addc_u32 s45, 0, s52
	s_add_u32 s44, s44, s51
	s_mul_i32 s49, s41, s49
	s_addc_u32 s44, s45, s50
	s_addc_u32 s45, s48, 0
	s_add_u32 s44, s44, s49
	s_addc_u32 s45, 0, s45
	v_add_co_u32 v0, s44, v0, s44
	s_delay_alu instid0(VALU_DEP_1) | instskip(SKIP_1) | instid1(VALU_DEP_1)
	s_cmp_lg_u32 s44, 0
	s_addc_u32 s41, s41, s45
	v_readfirstlane_b32 s44, v0
	s_mul_i32 s48, s20, s41
	s_mul_hi_u32 s45, s20, s41
	s_mul_hi_u32 s49, s21, s41
	s_mul_i32 s41, s21, s41
	s_mul_hi_u32 s50, s20, s44
	s_mul_hi_u32 s51, s21, s44
	s_mul_i32 s44, s21, s44
	s_add_u32 s48, s50, s48
	s_addc_u32 s45, 0, s45
	s_add_u32 s44, s48, s44
	s_addc_u32 s44, s45, s51
	s_addc_u32 s45, s49, 0
	s_add_u32 s44, s44, s41
	s_addc_u32 s45, 0, s45
	s_mul_hi_u32 s41, s42, s44
	s_mul_i32 s49, s42, s45
	s_mul_i32 s50, s42, s44
	s_add_i32 s41, s41, s49
	v_sub_co_u32 v0, s49, s20, s50
	s_mul_i32 s48, s43, s44
	s_delay_alu instid0(SALU_CYCLE_1) | instskip(NEXT) | instid1(VALU_DEP_1)
	s_add_i32 s41, s41, s48
	v_sub_co_u32 v1, s50, v0, s42
	s_sub_i32 s48, s21, s41
	s_cmp_lg_u32 s49, 0
	s_subb_u32 s48, s48, s43
	s_cmp_lg_u32 s50, 0
	v_readfirstlane_b32 s50, v1
	s_subb_u32 s48, s48, 0
	s_delay_alu instid0(SALU_CYCLE_1) | instskip(SKIP_1) | instid1(VALU_DEP_1)
	s_cmp_ge_u32 s48, s43
	s_cselect_b32 s51, -1, 0
	s_cmp_ge_u32 s50, s42
	s_cselect_b32 s50, -1, 0
	s_cmp_eq_u32 s48, s43
	s_cselect_b32 s48, s50, s51
	s_add_u32 s50, s44, 1
	s_addc_u32 s51, s45, 0
	s_add_u32 s52, s44, 2
	s_addc_u32 s53, s45, 0
	s_cmp_lg_u32 s48, 0
	s_cselect_b32 s48, s52, s50
	s_cselect_b32 s50, s53, s51
	s_cmp_lg_u32 s49, 0
	v_readfirstlane_b32 s49, v0
	s_subb_u32 s41, s21, s41
	s_delay_alu instid0(SALU_CYCLE_1) | instskip(SKIP_1) | instid1(VALU_DEP_1)
	s_cmp_ge_u32 s41, s43
	s_cselect_b32 s51, -1, 0
	s_cmp_ge_u32 s49, s42
	s_cselect_b32 s49, -1, 0
	s_cmp_eq_u32 s41, s43
	s_cselect_b32 s41, s49, s51
	s_delay_alu instid0(SALU_CYCLE_1)
	s_cmp_lg_u32 s41, 0
	s_mov_b32 s41, 0
	s_cselect_b32 s45, s50, s45
	s_cselect_b32 s44, s48, s44
.LBB0_6:                                ;   in Loop: Header=BB0_4 Depth=1
	s_and_not1_b32 vcc_lo, exec_lo, s41
	s_cbranch_vccnz .LBB0_8
; %bb.7:                                ;   in Loop: Header=BB0_4 Depth=1
	v_cvt_f32_u32_e32 v0, s42
	s_sub_i32 s44, 0, s42
	s_waitcnt_depctr 0xfff
	v_rcp_iflag_f32_e32 v0, v0
	s_waitcnt_depctr 0xfff
	v_mul_f32_e32 v0, 0x4f7ffffe, v0
	s_delay_alu instid0(VALU_DEP_1) | instskip(NEXT) | instid1(VALU_DEP_1)
	v_cvt_u32_f32_e32 v0, v0
	v_readfirstlane_b32 s41, v0
	s_delay_alu instid0(VALU_DEP_1) | instskip(NEXT) | instid1(SALU_CYCLE_1)
	s_mul_i32 s44, s44, s41
	s_mul_hi_u32 s44, s41, s44
	s_delay_alu instid0(SALU_CYCLE_1) | instskip(NEXT) | instid1(SALU_CYCLE_1)
	s_add_i32 s41, s41, s44
	s_mul_hi_u32 s41, s20, s41
	s_delay_alu instid0(SALU_CYCLE_1) | instskip(SKIP_2) | instid1(SALU_CYCLE_1)
	s_mul_i32 s44, s41, s42
	s_add_i32 s45, s41, 1
	s_sub_i32 s44, s20, s44
	s_sub_i32 s48, s44, s42
	s_cmp_ge_u32 s44, s42
	s_cselect_b32 s41, s45, s41
	s_cselect_b32 s44, s48, s44
	s_add_i32 s45, s41, 1
	s_cmp_ge_u32 s44, s42
	s_cselect_b32 s44, s45, s41
	s_mov_b32 s45, s40
.LBB0_8:                                ;   in Loop: Header=BB0_4 Depth=1
	s_load_b64 s[48:49], s[34:35], 0x0
	s_load_b64 s[50:51], s[30:31], 0x0
	s_mul_i32 s29, s42, s29
	s_mul_hi_u32 s41, s42, s28
	s_mul_i32 s52, s43, s28
	s_mul_i32 s43, s44, s43
	s_mul_hi_u32 s53, s44, s42
	s_mul_i32 s54, s45, s42
	s_add_i32 s29, s41, s29
	s_add_i32 s41, s53, s43
	s_mul_i32 s55, s44, s42
	s_add_i32 s29, s29, s52
	s_add_i32 s41, s41, s54
	s_sub_u32 s20, s20, s55
	s_subb_u32 s21, s21, s41
	s_mul_i32 s28, s42, s28
	s_waitcnt lgkmcnt(0)
	s_mul_i32 s41, s48, s21
	s_mul_hi_u32 s43, s48, s20
	s_mul_i32 s49, s49, s20
	s_add_i32 s41, s43, s41
	s_mul_i32 s48, s48, s20
	s_mul_i32 s21, s50, s21
	s_mul_hi_u32 s43, s50, s20
	s_add_i32 s41, s41, s49
	s_add_u32 s7, s48, s7
	s_addc_u32 s46, s41, s46
	s_add_i32 s21, s43, s21
	s_mul_i32 s41, s51, s20
	s_mul_i32 s20, s50, s20
	s_add_i32 s21, s21, s41
	s_add_u32 s5, s20, s5
	s_addc_u32 s47, s21, s47
	s_add_u32 s36, s36, 1
	s_addc_u32 s37, s37, 0
	s_add_u32 s30, s30, 8
	v_cmp_ge_u64_e64 s20, s[36:37], s[10:11]
	s_addc_u32 s31, s31, 0
	s_add_u32 s34, s34, 8
	s_addc_u32 s35, s35, 0
	s_add_u32 s16, s16, 8
	s_addc_u32 s17, s17, 0
	s_and_b32 vcc_lo, exec_lo, s20
	s_cbranch_vccnz .LBB0_10
; %bb.9:                                ;   in Loop: Header=BB0_4 Depth=1
	s_mov_b64 s[20:21], s[44:45]
	s_branch .LBB0_4
.LBB0_10:
	v_cmp_lt_u64_e64 s16, s[26:27], s[28:29]
	s_mov_b64 s[20:21], 0
	s_delay_alu instid0(VALU_DEP_1)
	s_and_b32 vcc_lo, exec_lo, s16
	s_cbranch_vccnz .LBB0_12
; %bb.11:
	v_cvt_f32_u32_e32 v0, s28
	s_sub_i32 s17, 0, s28
	s_delay_alu instid0(VALU_DEP_1) | instskip(SKIP_2) | instid1(VALU_DEP_1)
	v_rcp_iflag_f32_e32 v0, v0
	s_waitcnt_depctr 0xfff
	v_mul_f32_e32 v0, 0x4f7ffffe, v0
	v_cvt_u32_f32_e32 v0, v0
	s_delay_alu instid0(VALU_DEP_1) | instskip(NEXT) | instid1(VALU_DEP_1)
	v_readfirstlane_b32 s16, v0
	s_mul_i32 s17, s17, s16
	s_delay_alu instid0(SALU_CYCLE_1) | instskip(NEXT) | instid1(SALU_CYCLE_1)
	s_mul_hi_u32 s17, s16, s17
	s_add_i32 s16, s16, s17
	s_delay_alu instid0(SALU_CYCLE_1) | instskip(NEXT) | instid1(SALU_CYCLE_1)
	s_mul_hi_u32 s16, s26, s16
	s_mul_i32 s17, s16, s28
	s_add_i32 s20, s16, 1
	s_sub_i32 s17, s26, s17
	s_delay_alu instid0(SALU_CYCLE_1)
	s_sub_i32 s21, s17, s28
	s_cmp_ge_u32 s17, s28
	s_cselect_b32 s16, s20, s16
	s_cselect_b32 s17, s21, s17
	s_add_i32 s20, s16, 1
	s_cmp_ge_u32 s17, s28
	s_cselect_b32 s20, s20, s16
.LBB0_12:
	v_mul_u32_u24_e32 v0, 0x2493, v2
	s_lshl_b64 s[16:17], s[10:11], 3
	v_mov_b32_e32 v7, 0
	s_add_u32 s10, s18, s16
	s_addc_u32 s11, s19, s17
	v_lshrrev_b32_e32 v73, 16, v0
	s_load_b64 s[10:11], s[10:11], 0x0
	v_mov_b32_e32 v8, 0
	s_delay_alu instid0(VALU_DEP_2) | instskip(NEXT) | instid1(VALU_DEP_1)
	v_mul_lo_u16 v0, v73, 7
	v_sub_nc_u16 v0, v2, v0
	s_delay_alu instid0(VALU_DEP_1) | instskip(NEXT) | instid1(VALU_DEP_1)
	v_and_b32_e32 v0, 0xffff, v0
	v_mad_u64_u32 v[71:72], null, s14, v0, 0
	s_waitcnt lgkmcnt(0)
	s_mul_i32 s10, s10, s20
	s_delay_alu instid0(SALU_CYCLE_1) | instskip(SKIP_3) | instid1(VALU_DEP_1)
	s_add_u32 s10, s10, s7
	s_add_u32 s62, s24, s16
	s_addc_u32 s63, s25, s17
	s_add_u32 s16, s33, 7
	v_mov_b32_e32 v1, v72
	v_add_co_u32 v69, s11, s33, v0
	s_delay_alu instid0(VALU_DEP_1)
	v_add_co_ci_u32_e64 v70, null, s13, 0, s11
	s_addc_u32 s17, s13, 0
	s_clause 0x1
	scratch_store_b32 off, v2, off offset:220
	scratch_store_b32 off, v0, off
	v_cmp_le_u64_e64 s7, s[16:17], s[22:23]
	v_cmp_gt_u64_e32 vcc_lo, s[22:23], v[69:70]
	v_mad_u64_u32 v[2:3], null, s15, v0, v[1:2]
	v_dual_mov_b32 v3, v7 :: v_dual_mov_b32 v4, v8
	v_dual_mov_b32 v1, v7 :: v_dual_mov_b32 v2, v8
	s_or_b32 s7, s7, vcc_lo
	s_delay_alu instid0(SALU_CYCLE_1)
	s_and_saveexec_b32 s11, s7
	s_cbranch_execz .LBB0_14
; %bb.13:
	v_mul_lo_u32 v0, s12, v73
	v_mov_b32_e32 v2, 0
	s_delay_alu instid0(VALU_DEP_2) | instskip(NEXT) | instid1(VALU_DEP_1)
	v_add3_u32 v1, s10, v71, v0
	v_lshlrev_b64 v[1:2], 4, v[1:2]
	s_delay_alu instid0(VALU_DEP_1) | instskip(NEXT) | instid1(VALU_DEP_2)
	v_add_co_u32 v1, vcc_lo, s0, v1
	v_add_co_ci_u32_e32 v2, vcc_lo, s1, v2, vcc_lo
	global_load_b128 v[1:4], v[1:2], off
.LBB0_14:
	s_or_b32 exec_lo, exec_lo, s11
	v_dual_mov_b32 v5, v7 :: v_dual_mov_b32 v6, v8
	s_and_saveexec_b32 s11, s7
	s_cbranch_execz .LBB0_16
; %bb.15:
	v_add_nc_u32_e32 v0, 17, v73
	v_mov_b32_e32 v6, 0
	s_delay_alu instid0(VALU_DEP_2) | instskip(NEXT) | instid1(VALU_DEP_1)
	v_mul_lo_u32 v0, s12, v0
	v_add3_u32 v5, s10, v71, v0
	s_delay_alu instid0(VALU_DEP_1) | instskip(NEXT) | instid1(VALU_DEP_1)
	v_lshlrev_b64 v[5:6], 4, v[5:6]
	v_add_co_u32 v5, vcc_lo, s0, v5
	s_delay_alu instid0(VALU_DEP_2)
	v_add_co_ci_u32_e32 v6, vcc_lo, s1, v6, vcc_lo
	global_load_b128 v[5:8], v[5:6], off
.LBB0_16:
	s_or_b32 exec_lo, exec_lo, s11
	v_mov_b32_e32 v15, 0
	v_mov_b32_e32 v16, 0
	s_delay_alu instid0(VALU_DEP_2) | instskip(NEXT) | instid1(VALU_DEP_2)
	v_mov_b32_e32 v11, v15
	v_dual_mov_b32 v9, v15 :: v_dual_mov_b32 v10, v16
	v_mov_b32_e32 v12, v16
	s_and_saveexec_b32 s11, s7
	s_cbranch_execz .LBB0_18
; %bb.17:
	v_add_nc_u32_e32 v0, 34, v73
	v_mov_b32_e32 v10, 0
	s_delay_alu instid0(VALU_DEP_2) | instskip(NEXT) | instid1(VALU_DEP_1)
	v_mul_lo_u32 v0, s12, v0
	v_add3_u32 v9, s10, v71, v0
	s_delay_alu instid0(VALU_DEP_1) | instskip(NEXT) | instid1(VALU_DEP_1)
	v_lshlrev_b64 v[9:10], 4, v[9:10]
	v_add_co_u32 v9, vcc_lo, s0, v9
	s_delay_alu instid0(VALU_DEP_2)
	v_add_co_ci_u32_e32 v10, vcc_lo, s1, v10, vcc_lo
	global_load_b128 v[9:12], v[9:10], off
.LBB0_18:
	s_or_b32 exec_lo, exec_lo, s11
	v_dual_mov_b32 v13, v15 :: v_dual_mov_b32 v14, v16
	s_and_saveexec_b32 s11, s7
	s_cbranch_execz .LBB0_20
; %bb.19:
	v_add_nc_u32_e32 v0, 51, v73
	v_mov_b32_e32 v14, 0
	s_delay_alu instid0(VALU_DEP_2) | instskip(NEXT) | instid1(VALU_DEP_1)
	v_mul_lo_u32 v0, s12, v0
	v_add3_u32 v13, s10, v71, v0
	s_delay_alu instid0(VALU_DEP_1) | instskip(NEXT) | instid1(VALU_DEP_1)
	v_lshlrev_b64 v[13:14], 4, v[13:14]
	v_add_co_u32 v13, vcc_lo, s0, v13
	s_delay_alu instid0(VALU_DEP_2)
	v_add_co_ci_u32_e32 v14, vcc_lo, s1, v14, vcc_lo
	global_load_b128 v[13:16], v[13:14], off
.LBB0_20:
	s_or_b32 exec_lo, exec_lo, s11
	v_mov_b32_e32 v23, 0
	v_mov_b32_e32 v24, 0
	s_delay_alu instid0(VALU_DEP_2) | instskip(NEXT) | instid1(VALU_DEP_2)
	v_mov_b32_e32 v19, v23
	v_dual_mov_b32 v17, v23 :: v_dual_mov_b32 v18, v24
	v_mov_b32_e32 v20, v24
	s_and_saveexec_b32 s11, s7
	s_cbranch_execz .LBB0_22
; %bb.21:
	v_add_nc_u32_e32 v0, 0x44, v73
	v_mov_b32_e32 v18, 0
	s_delay_alu instid0(VALU_DEP_2) | instskip(NEXT) | instid1(VALU_DEP_1)
	v_mul_lo_u32 v0, s12, v0
	v_add3_u32 v17, s10, v71, v0
	s_delay_alu instid0(VALU_DEP_1) | instskip(NEXT) | instid1(VALU_DEP_1)
	v_lshlrev_b64 v[17:18], 4, v[17:18]
	v_add_co_u32 v17, vcc_lo, s0, v17
	s_delay_alu instid0(VALU_DEP_2)
	v_add_co_ci_u32_e32 v18, vcc_lo, s1, v18, vcc_lo
	global_load_b128 v[17:20], v[17:18], off
.LBB0_22:
	;; [unrolled: 39-line block ×3, first 2 shown]
	s_or_b32 exec_lo, exec_lo, s11
	v_dual_mov_b32 v29, v31 :: v_dual_mov_b32 v30, v32
	s_and_saveexec_b32 s11, s7
	s_cbranch_execz .LBB0_28
; %bb.27:
	v_add_nc_u32_e32 v0, 0x77, v73
	v_mov_b32_e32 v30, 0
	s_delay_alu instid0(VALU_DEP_2) | instskip(NEXT) | instid1(VALU_DEP_1)
	v_mul_lo_u32 v0, s12, v0
	v_add3_u32 v29, s10, v71, v0
	s_delay_alu instid0(VALU_DEP_1) | instskip(NEXT) | instid1(VALU_DEP_1)
	v_lshlrev_b64 v[29:30], 4, v[29:30]
	v_add_co_u32 v29, vcc_lo, s0, v29
	s_delay_alu instid0(VALU_DEP_2)
	v_add_co_ci_u32_e32 v30, vcc_lo, s1, v30, vcc_lo
	global_load_b128 v[29:32], v[29:30], off
.LBB0_28:
	s_or_b32 exec_lo, exec_lo, s11
	v_mov_b32_e32 v35, 0
	v_mov_b32_e32 v36, 0
	s_delay_alu instid0(VALU_DEP_1)
	v_dual_mov_b32 v40, v36 :: v_dual_mov_b32 v39, v35
	v_dual_mov_b32 v38, v36 :: v_dual_mov_b32 v37, v35
	s_and_saveexec_b32 s11, s7
	s_cbranch_execz .LBB0_30
; %bb.29:
	v_add_nc_u32_e32 v0, 0x88, v73
	v_mov_b32_e32 v34, 0
	s_delay_alu instid0(VALU_DEP_2) | instskip(NEXT) | instid1(VALU_DEP_1)
	v_mul_lo_u32 v0, s12, v0
	v_add3_u32 v33, s10, v71, v0
	s_delay_alu instid0(VALU_DEP_1) | instskip(NEXT) | instid1(VALU_DEP_1)
	v_lshlrev_b64 v[33:34], 4, v[33:34]
	v_add_co_u32 v33, vcc_lo, s0, v33
	s_delay_alu instid0(VALU_DEP_2)
	v_add_co_ci_u32_e32 v34, vcc_lo, s1, v34, vcc_lo
	global_load_b128 v[37:40], v[33:34], off
.LBB0_30:
	s_or_b32 exec_lo, exec_lo, s11
	v_dual_mov_b32 v33, v35 :: v_dual_mov_b32 v34, v36
	s_and_saveexec_b32 s11, s7
	s_cbranch_execz .LBB0_32
; %bb.31:
	v_add_nc_u32_e32 v0, 0x99, v73
	v_mov_b32_e32 v34, 0
	s_delay_alu instid0(VALU_DEP_2) | instskip(NEXT) | instid1(VALU_DEP_1)
	v_mul_lo_u32 v0, s12, v0
	v_add3_u32 v33, s10, v71, v0
	s_delay_alu instid0(VALU_DEP_1) | instskip(NEXT) | instid1(VALU_DEP_1)
	v_lshlrev_b64 v[33:34], 4, v[33:34]
	v_add_co_u32 v33, vcc_lo, s0, v33
	s_delay_alu instid0(VALU_DEP_2)
	v_add_co_ci_u32_e32 v34, vcc_lo, s1, v34, vcc_lo
	global_load_b128 v[33:36], v[33:34], off
.LBB0_32:
	s_or_b32 exec_lo, exec_lo, s11
	v_mov_b32_e32 v43, 0
	v_mov_b32_e32 v44, 0
	s_delay_alu instid0(VALU_DEP_1)
	v_dual_mov_b32 v48, v44 :: v_dual_mov_b32 v47, v43
	v_dual_mov_b32 v46, v44 :: v_dual_mov_b32 v45, v43
	s_and_saveexec_b32 s11, s7
	s_cbranch_execz .LBB0_34
; %bb.33:
	v_add_nc_u32_e32 v0, 0xaa, v73
	v_mov_b32_e32 v42, 0
	s_delay_alu instid0(VALU_DEP_2) | instskip(NEXT) | instid1(VALU_DEP_1)
	v_mul_lo_u32 v0, s12, v0
	v_add3_u32 v41, s10, v71, v0
	s_delay_alu instid0(VALU_DEP_1) | instskip(NEXT) | instid1(VALU_DEP_1)
	v_lshlrev_b64 v[41:42], 4, v[41:42]
	v_add_co_u32 v41, vcc_lo, s0, v41
	s_delay_alu instid0(VALU_DEP_2)
	v_add_co_ci_u32_e32 v42, vcc_lo, s1, v42, vcc_lo
	global_load_b128 v[45:48], v[41:42], off
.LBB0_34:
	;; [unrolled: 38-line block ×4, first 2 shown]
	s_or_b32 exec_lo, exec_lo, s11
	v_dual_mov_b32 v57, v59 :: v_dual_mov_b32 v58, v60
	s_and_saveexec_b32 s11, s7
	s_cbranch_execz .LBB0_44
; %bb.43:
	v_add_nc_u32_e32 v0, 0xff, v73
	v_mov_b32_e32 v58, 0
	s_delay_alu instid0(VALU_DEP_2) | instskip(NEXT) | instid1(VALU_DEP_1)
	v_mul_lo_u32 v0, s12, v0
	v_add3_u32 v57, s10, v71, v0
	s_delay_alu instid0(VALU_DEP_1) | instskip(NEXT) | instid1(VALU_DEP_1)
	v_lshlrev_b64 v[57:58], 4, v[57:58]
	v_add_co_u32 v57, vcc_lo, s0, v57
	s_delay_alu instid0(VALU_DEP_2)
	v_add_co_ci_u32_e32 v58, vcc_lo, s1, v58, vcc_lo
	global_load_b128 v[57:60], v[57:58], off
.LBB0_44:
	s_or_b32 exec_lo, exec_lo, s11
	v_mov_b32_e32 v67, 0
	v_mov_b32_e32 v68, 0
	s_delay_alu instid0(VALU_DEP_1)
	v_dual_mov_b32 v65, v67 :: v_dual_mov_b32 v66, v68
	s_and_saveexec_b32 s11, s7
	s_cbranch_execz .LBB0_46
; %bb.45:
	v_add_nc_u32_e32 v0, 0x110, v73
	v_mov_b32_e32 v66, 0
	s_delay_alu instid0(VALU_DEP_2) | instskip(NEXT) | instid1(VALU_DEP_1)
	v_mul_lo_u32 v0, s12, v0
	v_add3_u32 v65, s10, v71, v0
	s_delay_alu instid0(VALU_DEP_1) | instskip(NEXT) | instid1(VALU_DEP_1)
	v_lshlrev_b64 v[65:66], 4, v[65:66]
	v_add_co_u32 v65, vcc_lo, s0, v65
	s_delay_alu instid0(VALU_DEP_2)
	v_add_co_ci_u32_e32 v66, vcc_lo, s1, v66, vcc_lo
	global_load_b128 v[65:68], v[65:66], off
.LBB0_46:
	s_or_b32 exec_lo, exec_lo, s11
	s_waitcnt vmcnt(0)
	v_add_f64 v[70:71], v[1:2], v[5:6]
	scratch_store_b32 off, v73, off offset:4 ; 4-byte Folded Spill
	v_add_f64 v[72:73], v[3:4], v[7:8]
	v_add_f64 v[130:131], v[37:38], -v[33:34]
	v_add_f64 v[132:133], v[39:40], -v[35:36]
	;; [unrolled: 1-line block ×14, first 2 shown]
	s_mov_b32 s36, 0x5d8e7cdc
	s_mov_b32 s42, 0x2a9d6da3
	;; [unrolled: 1-line block ×21, first 2 shown]
	v_add_f64 v[70:71], v[70:71], v[9:10]
	s_mov_b32 s22, 0x6ed5f1bb
	v_add_f64 v[72:73], v[72:73], v[11:12]
	s_mov_b32 s10, 0x910ea3b9
	s_mov_b32 s18, 0x7faef3
	;; [unrolled: 1-line block ×10, first 2 shown]
	v_mul_f64 v[110:111], v[168:169], s[34:35]
	v_mul_f64 v[112:113], v[158:159], s[34:35]
	s_mov_b32 s57, 0x3fe0d888
	s_mov_b32 s56, s30
	;; [unrolled: 1-line block ×3, first 2 shown]
	v_mul_f64 v[114:115], v[148:149], s[56:57]
	v_mul_f64 v[116:117], v[142:143], s[56:57]
	s_mov_b32 s52, s26
	s_mov_b32 s47, 0x3feca52d
	v_mul_f64 v[118:119], v[140:141], s[52:53]
	v_mul_f64 v[120:121], v[138:139], s[52:53]
	s_mov_b32 s46, s44
	s_mov_b32 s49, 0x3fd71e95
	v_mul_f64 v[122:123], v[136:137], s[46:47]
	v_mul_f64 v[124:125], v[134:135], s[46:47]
	s_mov_b32 s48, s36
	v_mul_f64 v[144:145], v[188:189], s[28:29]
	v_mul_f64 v[126:127], v[132:133], s[48:49]
	v_mul_f64 v[128:129], v[130:131], s[48:49]
	s_mov_b32 s61, 0x3fc7851a
	s_mov_b32 s60, s34
	v_mul_f64 v[154:155], v[168:169], s[52:53]
	v_mul_f64 v[152:153], v[174:175], s[60:61]
	;; [unrolled: 1-line block ×3, first 2 shown]
	s_mov_b32 s51, 0x3fe58eea
	v_add_f64 v[70:71], v[70:71], v[13:14]
	s_mov_b32 s50, s42
	v_add_f64 v[72:73], v[72:73], v[15:16]
	v_mul_f64 v[160:161], v[148:149], s[50:51]
	v_mul_f64 v[162:163], v[142:143], s[50:51]
	;; [unrolled: 1-line block ×18, first 2 shown]
	s_mov_b32 s59, 0x3fe9895b
	s_mov_b32 s58, s28
	v_mul_f64 v[240:241], v[132:133], s[50:51]
	v_mul_f64 v[236:237], v[136:137], s[58:59]
	;; [unrolled: 1-line block ×10, first 2 shown]
	s_mov_b32 s55, 0x3fefdd0d
	s_mov_b32 s54, s40
	s_load_b64 s[62:63], s[62:63], 0x0
	v_add_f64 v[70:71], v[70:71], v[17:18]
	v_add_f64 v[72:73], v[72:73], v[19:20]
	s_delay_alu instid0(VALU_DEP_2) | instskip(NEXT) | instid1(VALU_DEP_2)
	v_add_f64 v[70:71], v[70:71], v[21:22]
	v_add_f64 v[72:73], v[72:73], v[23:24]
	s_delay_alu instid0(VALU_DEP_2) | instskip(NEXT) | instid1(VALU_DEP_2)
	;; [unrolled: 3-line block ×3, first 2 shown]
	v_add_f64 v[70:71], v[70:71], v[29:30]
	v_add_f64 v[72:73], v[72:73], v[31:32]
	s_delay_alu instid0(VALU_DEP_2) | instskip(SKIP_1) | instid1(VALU_DEP_3)
	v_add_f64 v[74:75], v[70:71], v[37:38]
	v_add_f64 v[70:71], v[37:38], v[33:34]
	;; [unrolled: 1-line block ×4, first 2 shown]
	s_delay_alu instid0(VALU_DEP_4) | instskip(SKIP_1) | instid1(VALU_DEP_4)
	v_add_f64 v[37:38], v[74:75], v[33:34]
	v_add_f64 v[33:34], v[29:30], v[45:46]
	;; [unrolled: 1-line block ×10, first 2 shown]
	s_delay_alu instid0(VALU_DEP_4) | instskip(SKIP_1) | instid1(VALU_DEP_4)
	v_add_f64 v[25:26], v[37:38], v[41:42]
	v_add_f64 v[37:38], v[21:22], v[53:54]
	;; [unrolled: 1-line block ×8, first 2 shown]
	s_delay_alu instid0(VALU_DEP_2) | instskip(SKIP_1) | instid1(VALU_DEP_3)
	v_add_f64 v[17:18], v[21:22], v[49:50]
	v_add_f64 v[49:50], v[9:10], v[57:58]
	;; [unrolled: 1-line block ×4, first 2 shown]
	s_delay_alu instid0(VALU_DEP_4) | instskip(SKIP_1) | instid1(VALU_DEP_4)
	v_add_f64 v[13:14], v[17:18], v[61:62]
	v_add_f64 v[17:18], v[7:8], v[67:68]
	;; [unrolled: 1-line block ×3, first 2 shown]
	v_add_f64 v[19:20], v[5:6], -v[65:66]
	s_delay_alu instid0(VALU_DEP_4) | instskip(SKIP_1) | instid1(VALU_DEP_4)
	v_add_f64 v[9:10], v[13:14], v[57:58]
	v_add_f64 v[13:14], v[7:8], -v[67:68]
	v_add_f64 v[11:12], v[15:16], v[59:60]
	v_add_f64 v[15:16], v[5:6], v[65:66]
	v_mul_f64 v[61:62], v[19:20], s[44:45]
	v_mul_f64 v[80:81], v[19:20], s[40:41]
	;; [unrolled: 1-line block ×5, first 2 shown]
	v_add_f64 v[182:183], v[9:10], v[65:66]
	v_mul_f64 v[9:10], v[13:14], s[36:37]
	v_add_f64 v[184:185], v[11:12], v[67:68]
	v_mul_f64 v[11:12], v[13:14], s[42:43]
	v_mul_f64 v[21:22], v[13:14], s[44:45]
	v_mul_f64 v[23:24], v[13:14], s[40:41]
	v_mul_f64 v[25:26], v[13:14], s[26:27]
	v_mul_f64 v[27:28], v[13:14], s[28:29]
	v_mul_f64 v[53:54], v[13:14], s[30:31]
	v_mul_f64 v[13:14], v[13:14], s[34:35]
	v_fma_f64 v[98:99], v[17:18], s[24:25], v[61:62]
	v_fma_f64 v[100:101], v[17:18], s[12:13], -v[80:81]
	v_fma_f64 v[80:81], v[17:18], s[12:13], v[80:81]
	v_fma_f64 v[94:95], v[17:18], s[24:25], -v[61:62]
	v_fma_f64 v[102:103], v[17:18], s[16:17], -v[82:83]
	v_fma_f64 v[82:83], v[17:18], s[16:17], v[82:83]
	v_fma_f64 v[104:105], v[17:18], s[22:23], -v[84:85]
	v_fma_f64 v[84:85], v[17:18], s[22:23], v[84:85]
	v_fma_f64 v[106:107], v[17:18], s[10:11], -v[86:87]
	v_fma_f64 v[86:87], v[17:18], s[10:11], v[86:87]
	v_mul_f64 v[61:62], v[136:137], s[36:37]
	v_fma_f64 v[55:56], v[15:16], s[0:1], v[9:10]
	v_fma_f64 v[9:10], v[15:16], s[0:1], -v[9:10]
	v_fma_f64 v[57:58], v[15:16], s[14:15], v[11:12]
	v_fma_f64 v[11:12], v[15:16], s[14:15], -v[11:12]
	;; [unrolled: 2-line block ×8, first 2 shown]
	v_mul_f64 v[15:16], v[19:20], s[36:37]
	v_mul_f64 v[53:54], v[19:20], s[42:43]
	;; [unrolled: 1-line block ×3, first 2 shown]
	v_add_f64 v[150:151], v[3:4], v[94:95]
	v_add_f64 v[190:191], v[3:4], v[100:101]
	;; [unrolled: 1-line block ×7, first 2 shown]
	v_mul_f64 v[102:103], v[188:189], s[40:41]
	v_mul_f64 v[104:105], v[186:187], s[40:41]
	v_add_f64 v[5:6], v[1:2], v[9:10]
	v_add_f64 v[9:10], v[1:2], v[57:58]
	v_mul_f64 v[57:58], v[140:141], s[54:55]
	v_add_f64 v[146:147], v[1:2], v[59:60]
	v_mul_f64 v[59:60], v[138:139], s[54:55]
	v_add_f64 v[100:101], v[1:2], v[25:26]
	v_add_f64 v[25:26], v[1:2], v[67:68]
	;; [unrolled: 1-line block ×7, first 2 shown]
	v_fma_f64 v[88:89], v[17:18], s[0:1], -v[15:16]
	v_fma_f64 v[15:16], v[17:18], s[0:1], v[15:16]
	v_fma_f64 v[92:93], v[17:18], s[14:15], v[53:54]
	v_fma_f64 v[90:91], v[17:18], s[14:15], -v[53:54]
	v_fma_f64 v[108:109], v[17:18], s[18:19], -v[19:20]
	v_fma_f64 v[17:18], v[17:18], s[18:19], v[19:20]
	v_add_f64 v[19:20], v[1:2], v[55:56]
	v_mul_f64 v[67:68], v[136:137], s[30:31]
	v_mul_f64 v[74:75], v[176:177], s[28:29]
	;; [unrolled: 1-line block ×3, first 2 shown]
	v_fma_f64 v[27:28], v[45:46], s[14:15], v[248:249]
	v_mul_f64 v[53:54], v[148:149], s[34:35]
	v_mul_f64 v[55:56], v[142:143], s[34:35]
	scratch_store_b64 off, v[5:6], off offset:20 ; 8-byte Folded Spill
	v_add_f64 v[88:89], v[3:4], v[88:89]
	v_add_f64 v[5:6], v[3:4], v[15:16]
	v_add_f64 v[15:16], v[3:4], v[90:91]
	v_add_f64 v[210:211], v[3:4], v[108:109]
	v_add_f64 v[96:97], v[3:4], v[17:18]
	v_mul_f64 v[90:91], v[132:133], s[34:35]
	v_fma_f64 v[13:14], v[45:46], s[22:23], v[74:75]
	scratch_store_b64 off, v[5:6], off offset:36 ; 8-byte Folded Spill
	v_add_f64 v[5:6], v[1:2], v[11:12]
	scratch_store_b64 off, v[5:6], off offset:68 ; 8-byte Folded Spill
	v_add_f64 v[5:6], v[3:4], v[92:93]
	v_mul_f64 v[92:93], v[130:131], s[34:35]
	scratch_store_b64 off, v[5:6], off offset:52 ; 8-byte Folded Spill
	v_add_f64 v[5:6], v[1:2], v[21:22]
	v_add_f64 v[21:22], v[1:2], v[63:64]
	v_mul_f64 v[63:64], v[132:133], s[28:29]
	scratch_store_b64 off, v[5:6], off offset:188 ; 8-byte Folded Spill
	v_add_f64 v[5:6], v[3:4], v[98:99]
	scratch_store_b64 off, v[5:6], off offset:180 ; 8-byte Folded Spill
	v_add_f64 v[5:6], v[1:2], v[23:24]
	v_add_f64 v[23:24], v[1:2], v[65:66]
	v_mul_f64 v[0:1], v[188:189], s[42:43]
	v_mul_f64 v[65:66], v[134:135], s[36:37]
	scratch_store_b64 off, v[5:6], off offset:204 ; 8-byte Folded Spill
	v_add_f64 v[5:6], v[3:4], v[80:81]
	scratch_store_b64 off, v[5:6], off offset:196 ; 8-byte Folded Spill
	v_add_f64 v[5:6], v[3:4], v[82:83]
	v_mul_f64 v[3:4], v[186:187], s[42:43]
	scratch_store_b64 off, v[0:1], off offset:84 ; 8-byte Folded Spill
	v_fma_f64 v[1:2], v[49:50], s[14:15], v[0:1]
	scratch_store_b64 off, v[5:6], off offset:212 ; 8-byte Folded Spill
	v_mul_f64 v[5:6], v[176:177], s[44:45]
	scratch_store_b64 off, v[3:4], off offset:100 ; 8-byte Folded Spill
	v_add_f64 v[1:2], v[1:2], v[19:20]
	v_fma_f64 v[3:4], v[51:52], s[14:15], -v[3:4]
	v_fma_f64 v[19:20], v[51:52], s[18:19], -v[218:219]
	scratch_store_b64 off, v[5:6], off offset:108 ; 8-byte Folded Spill
	v_fma_f64 v[11:12], v[45:46], s[24:25], v[5:6]
	v_mul_f64 v[5:6], v[174:175], s[44:45]
	v_add_f64 v[3:4], v[3:4], v[88:89]
	v_add_f64 v[19:20], v[19:20], v[190:191]
	v_mul_f64 v[190:191], v[186:187], s[52:53]
	v_add_f64 v[1:2], v[11:12], v[1:2]
	scratch_store_b64 off, v[5:6], off offset:116 ; 8-byte Folded Spill
	v_fma_f64 v[11:12], v[47:48], s[24:25], -v[5:6]
	v_mul_f64 v[5:6], v[168:169], s[40:41]
	s_delay_alu instid0(VALU_DEP_2) | instskip(SKIP_3) | instid1(VALU_DEP_2)
	v_add_f64 v[3:4], v[11:12], v[3:4]
	scratch_store_b64 off, v[5:6], off offset:124 ; 8-byte Folded Spill
	v_fma_f64 v[11:12], v[41:42], s[12:13], v[5:6]
	v_mul_f64 v[5:6], v[158:159], s[40:41]
	v_add_f64 v[1:2], v[11:12], v[1:2]
	scratch_store_b64 off, v[5:6], off offset:132 ; 8-byte Folded Spill
	v_fma_f64 v[11:12], v[43:44], s[12:13], -v[5:6]
	v_mul_f64 v[5:6], v[148:149], s[26:27]
	s_delay_alu instid0(VALU_DEP_2) | instskip(SKIP_3) | instid1(VALU_DEP_2)
	v_add_f64 v[3:4], v[11:12], v[3:4]
	scratch_store_b64 off, v[5:6], off offset:140 ; 8-byte Folded Spill
	v_fma_f64 v[11:12], v[37:38], s[16:17], v[5:6]
	;; [unrolled: 9-line block ×3, first 2 shown]
	v_mul_f64 v[5:6], v[138:139], s[28:29]
	v_add_f64 v[1:2], v[11:12], v[1:2]
	s_delay_alu instid0(VALU_DEP_2)
	v_fma_f64 v[11:12], v[31:32], s[22:23], -v[5:6]
	scratch_store_b64 off, v[5:6], off offset:164 ; 8-byte Folded Spill
	v_mul_f64 v[5:6], v[134:135], s[30:31]
	v_add_f64 v[3:4], v[11:12], v[3:4]
	v_fma_f64 v[11:12], v[33:34], s[10:11], v[67:68]
	scratch_store_b64 off, v[5:6], off offset:172 ; 8-byte Folded Spill
	v_add_f64 v[1:2], v[11:12], v[1:2]
	v_fma_f64 v[11:12], v[35:36], s[10:11], -v[5:6]
	v_mul_f64 v[6:7], v[138:139], s[42:43]
	s_delay_alu instid0(VALU_DEP_2) | instskip(SKIP_1) | instid1(VALU_DEP_1)
	v_add_f64 v[3:4], v[11:12], v[3:4]
	v_fma_f64 v[11:12], v[70:71], s[18:19], v[90:91]
	v_add_f64 v[106:107], v[11:12], v[1:2]
	v_fma_f64 v[11:12], v[72:73], s[18:19], -v[92:93]
	v_mul_f64 v[0:1], v[132:133], s[46:47]
	s_delay_alu instid0(VALU_DEP_2) | instskip(SKIP_3) | instid1(VALU_DEP_3)
	v_add_f64 v[108:109], v[11:12], v[3:4]
	v_fma_f64 v[11:12], v[49:50], s[12:13], v[102:103]
	v_mul_f64 v[4:5], v[136:137], s[34:35]
	v_mul_f64 v[2:3], v[134:135], s[34:35]
	v_add_f64 v[9:10], v[11:12], v[9:10]
	v_fma_f64 v[11:12], v[51:52], s[12:13], -v[104:105]
	s_delay_alu instid0(VALU_DEP_2) | instskip(NEXT) | instid1(VALU_DEP_2)
	v_add_f64 v[9:10], v[13:14], v[9:10]
	v_add_f64 v[11:12], v[11:12], v[15:16]
	v_fma_f64 v[13:14], v[47:48], s[22:23], -v[76:77]
	s_delay_alu instid0(VALU_DEP_1) | instskip(SKIP_1) | instid1(VALU_DEP_1)
	v_add_f64 v[11:12], v[13:14], v[11:12]
	v_fma_f64 v[13:14], v[41:42], s[18:19], v[110:111]
	v_add_f64 v[9:10], v[13:14], v[9:10]
	v_fma_f64 v[13:14], v[43:44], s[18:19], -v[112:113]
	s_delay_alu instid0(VALU_DEP_1) | instskip(SKIP_1) | instid1(VALU_DEP_1)
	v_add_f64 v[11:12], v[13:14], v[11:12]
	v_fma_f64 v[13:14], v[37:38], s[10:11], v[114:115]
	;; [unrolled: 5-line block ×5, first 2 shown]
	v_add_f64 v[86:87], v[13:14], v[9:10]
	v_fma_f64 v[13:14], v[72:73], s[0:1], -v[128:129]
	v_mul_f64 v[8:9], v[140:141], s[42:43]
	s_delay_alu instid0(VALU_DEP_2) | instskip(SKIP_2) | instid1(VALU_DEP_2)
	v_add_f64 v[88:89], v[13:14], v[11:12]
	v_fma_f64 v[13:14], v[49:50], s[22:23], v[144:145]
	v_fma_f64 v[10:11], v[33:34], s[0:1], v[61:62]
	v_add_f64 v[13:14], v[13:14], v[146:147]
	v_mul_f64 v[146:147], v[186:187], s[28:29]
	s_delay_alu instid0(VALU_DEP_1) | instskip(NEXT) | instid1(VALU_DEP_1)
	v_fma_f64 v[15:16], v[51:52], s[22:23], -v[146:147]
	v_add_f64 v[15:16], v[15:16], v[150:151]
	v_mul_f64 v[150:151], v[176:177], s[60:61]
	s_delay_alu instid0(VALU_DEP_1) | instskip(NEXT) | instid1(VALU_DEP_1)
	v_fma_f64 v[17:18], v[45:46], s[18:19], v[150:151]
	v_add_f64 v[13:14], v[17:18], v[13:14]
	v_fma_f64 v[17:18], v[47:48], s[18:19], -v[152:153]
	s_delay_alu instid0(VALU_DEP_1) | instskip(SKIP_1) | instid1(VALU_DEP_1)
	v_add_f64 v[15:16], v[17:18], v[15:16]
	v_fma_f64 v[17:18], v[41:42], s[16:17], v[154:155]
	v_add_f64 v[13:14], v[17:18], v[13:14]
	v_fma_f64 v[17:18], v[43:44], s[16:17], -v[156:157]
	s_delay_alu instid0(VALU_DEP_1) | instskip(SKIP_1) | instid1(VALU_DEP_1)
	v_add_f64 v[15:16], v[17:18], v[15:16]
	;; [unrolled: 5-line block ×5, first 2 shown]
	v_fma_f64 v[17:18], v[70:71], s[10:11], v[178:179]
	v_add_f64 v[82:83], v[17:18], v[13:14]
	v_fma_f64 v[17:18], v[72:73], s[10:11], -v[180:181]
	v_mul_f64 v[12:13], v[148:149], s[54:55]
	s_delay_alu instid0(VALU_DEP_2) | instskip(SKIP_2) | instid1(VALU_DEP_2)
	v_add_f64 v[84:85], v[17:18], v[15:16]
	v_fma_f64 v[17:18], v[49:50], s[18:19], v[216:217]
	v_fma_f64 v[14:15], v[35:36], s[0:1], -v[65:66]
	v_add_f64 v[17:18], v[17:18], v[21:22]
	v_fma_f64 v[21:22], v[45:46], s[16:17], v[220:221]
	s_delay_alu instid0(VALU_DEP_1) | instskip(SKIP_1) | instid1(VALU_DEP_1)
	v_add_f64 v[17:18], v[21:22], v[17:18]
	v_fma_f64 v[21:22], v[47:48], s[16:17], -v[222:223]
	v_add_f64 v[19:20], v[21:22], v[19:20]
	v_fma_f64 v[21:22], v[41:42], s[0:1], v[224:225]
	s_delay_alu instid0(VALU_DEP_1) | instskip(SKIP_1) | instid1(VALU_DEP_1)
	v_add_f64 v[17:18], v[21:22], v[17:18]
	;; [unrolled: 5-line block ×5, first 2 shown]
	v_fma_f64 v[21:22], v[35:36], s[22:23], -v[238:239]
	v_add_f64 v[19:20], v[21:22], v[19:20]
	v_fma_f64 v[21:22], v[70:71], s[14:15], v[240:241]
	s_delay_alu instid0(VALU_DEP_1) | instskip(SKIP_2) | instid1(VALU_DEP_2)
	v_add_f64 v[78:79], v[21:22], v[17:18]
	v_fma_f64 v[21:22], v[72:73], s[14:15], -v[242:243]
	v_mul_f64 v[16:17], v[188:189], s[52:53]
	v_add_f64 v[80:81], v[21:22], v[19:20]
	v_fma_f64 v[21:22], v[49:50], s[10:11], v[244:245]
	v_fma_f64 v[18:19], v[70:71], s[22:23], v[63:64]
	s_delay_alu instid0(VALU_DEP_2) | instskip(SKIP_1) | instid1(VALU_DEP_2)
	v_add_f64 v[21:22], v[21:22], v[23:24]
	v_fma_f64 v[23:24], v[51:52], s[10:11], -v[246:247]
	v_add_f64 v[21:22], v[27:28], v[21:22]
	s_delay_alu instid0(VALU_DEP_2) | instskip(SKIP_2) | instid1(VALU_DEP_2)
	v_add_f64 v[23:24], v[23:24], v[192:193]
	v_fma_f64 v[27:28], v[47:48], s[14:15], -v[250:251]
	v_mul_f64 v[192:193], v[176:177], s[36:37]
	v_add_f64 v[23:24], v[27:28], v[23:24]
	v_fma_f64 v[27:28], v[41:42], s[24:25], v[252:253]
	s_delay_alu instid0(VALU_DEP_1) | instskip(SKIP_1) | instid1(VALU_DEP_1)
	v_add_f64 v[21:22], v[27:28], v[21:22]
	v_fma_f64 v[27:28], v[43:44], s[24:25], -v[254:255]
	v_add_f64 v[23:24], v[27:28], v[23:24]
	v_fma_f64 v[27:28], v[37:38], s[18:19], v[53:54]
	s_delay_alu instid0(VALU_DEP_1) | instskip(SKIP_1) | instid1(VALU_DEP_1)
	v_add_f64 v[21:22], v[27:28], v[21:22]
	v_fma_f64 v[27:28], v[39:40], s[18:19], -v[55:56]
	v_add_f64 v[23:24], v[27:28], v[23:24]
	v_fma_f64 v[27:28], v[29:30], s[12:13], v[57:58]
	s_delay_alu instid0(VALU_DEP_1) | instskip(SKIP_1) | instid1(VALU_DEP_2)
	v_add_f64 v[21:22], v[27:28], v[21:22]
	v_fma_f64 v[27:28], v[31:32], s[12:13], -v[59:60]
	v_add_f64 v[10:11], v[10:11], v[21:22]
	s_delay_alu instid0(VALU_DEP_2) | instskip(SKIP_2) | instid1(VALU_DEP_4)
	v_add_f64 v[23:24], v[27:28], v[23:24]
	v_mul_f64 v[20:21], v[130:131], s[28:29]
	v_fma_f64 v[27:28], v[45:46], s[0:1], v[192:193]
	v_add_f64 v[212:213], v[18:19], v[10:11]
	s_delay_alu instid0(VALU_DEP_4) | instskip(NEXT) | instid1(VALU_DEP_4)
	v_add_f64 v[14:15], v[14:15], v[23:24]
	v_fma_f64 v[18:19], v[72:73], s[22:23], -v[20:21]
	v_mul_f64 v[10:11], v[142:143], s[54:55]
	s_delay_alu instid0(VALU_DEP_2) | instskip(SKIP_3) | instid1(VALU_DEP_3)
	v_add_f64 v[214:215], v[18:19], v[14:15]
	v_fma_f64 v[18:19], v[49:50], s[16:17], v[16:17]
	v_mul_f64 v[14:15], v[168:169], s[30:31]
	v_fma_f64 v[16:17], v[49:50], s[16:17], -v[16:17]
	v_add_f64 v[18:19], v[18:19], v[25:26]
	v_fma_f64 v[25:26], v[51:52], s[16:17], -v[190:191]
	s_delay_alu instid0(VALU_DEP_4) | instskip(NEXT) | instid1(VALU_DEP_4)
	v_fma_f64 v[22:23], v[41:42], s[10:11], v[14:15]
	v_add_f64 v[16:17], v[16:17], v[196:197]
	v_fma_f64 v[14:15], v[41:42], s[10:11], -v[14:15]
	v_add_f64 v[18:19], v[27:28], v[18:19]
	v_add_f64 v[25:26], v[25:26], v[194:195]
	v_mul_f64 v[194:195], v[174:175], s[36:37]
	s_delay_alu instid0(VALU_DEP_3) | instskip(SKIP_1) | instid1(VALU_DEP_3)
	v_add_f64 v[18:19], v[22:23], v[18:19]
	v_mul_f64 v[22:23], v[158:159], s[30:31]
	v_fma_f64 v[27:28], v[47:48], s[0:1], -v[194:195]
	s_delay_alu instid0(VALU_DEP_1) | instskip(NEXT) | instid1(VALU_DEP_3)
	v_add_f64 v[25:26], v[27:28], v[25:26]
	v_fma_f64 v[27:28], v[43:44], s[10:11], -v[22:23]
	s_delay_alu instid0(VALU_DEP_1) | instskip(SKIP_2) | instid1(VALU_DEP_2)
	v_add_f64 v[24:25], v[27:28], v[25:26]
	v_fma_f64 v[26:27], v[37:38], s[12:13], v[12:13]
	v_fma_f64 v[12:13], v[37:38], s[12:13], -v[12:13]
	v_add_f64 v[18:19], v[26:27], v[18:19]
	v_fma_f64 v[26:27], v[39:40], s[12:13], -v[10:11]
	v_fma_f64 v[10:11], v[39:40], s[12:13], v[10:11]
	s_delay_alu instid0(VALU_DEP_2) | instskip(SKIP_2) | instid1(VALU_DEP_2)
	v_add_f64 v[24:25], v[26:27], v[24:25]
	v_fma_f64 v[26:27], v[29:30], s[14:15], v[8:9]
	v_fma_f64 v[8:9], v[29:30], s[14:15], -v[8:9]
	v_add_f64 v[18:19], v[26:27], v[18:19]
	v_fma_f64 v[26:27], v[31:32], s[14:15], -v[6:7]
	v_fma_f64 v[6:7], v[31:32], s[14:15], v[6:7]
	s_delay_alu instid0(VALU_DEP_2) | instskip(SKIP_2) | instid1(VALU_DEP_2)
	;; [unrolled: 7-line block ×3, first 2 shown]
	v_add_f64 v[27:28], v[26:27], v[24:25]
	v_fma_f64 v[24:25], v[70:71], s[24:25], v[0:1]
	v_fma_f64 v[0:1], v[70:71], s[24:25], -v[0:1]
	v_add_f64 v[25:26], v[24:25], v[18:19]
	v_mul_f64 v[18:19], v[130:131], s[46:47]
	s_delay_alu instid0(VALU_DEP_1) | instskip(NEXT) | instid1(VALU_DEP_1)
	v_fma_f64 v[98:99], v[72:73], s[24:25], -v[18:19]
	v_add_f64 v[27:28], v[98:99], v[27:28]
	v_fma_f64 v[98:99], v[51:52], s[16:17], v[190:191]
	v_fma_f64 v[190:191], v[45:46], s[0:1], -v[192:193]
	s_delay_alu instid0(VALU_DEP_2) | instskip(NEXT) | instid1(VALU_DEP_2)
	v_add_f64 v[98:99], v[98:99], v[198:199]
	v_add_f64 v[16:17], v[190:191], v[16:17]
	v_fma_f64 v[190:191], v[47:48], s[0:1], v[194:195]
	v_mul_f64 v[198:199], v[136:137], s[50:51]
	v_mul_f64 v[136:137], v[136:137], s[26:27]
	s_delay_alu instid0(VALU_DEP_4) | instskip(NEXT) | instid1(VALU_DEP_4)
	v_add_f64 v[14:15], v[14:15], v[16:17]
	v_add_f64 v[98:99], v[190:191], v[98:99]
	v_fma_f64 v[16:17], v[43:44], s[10:11], v[22:23]
	s_delay_alu instid0(VALU_DEP_3) | instskip(NEXT) | instid1(VALU_DEP_2)
	v_add_f64 v[12:13], v[12:13], v[14:15]
	v_add_f64 v[16:17], v[16:17], v[98:99]
	s_delay_alu instid0(VALU_DEP_2) | instskip(NEXT) | instid1(VALU_DEP_2)
	v_add_f64 v[8:9], v[8:9], v[12:13]
	v_add_f64 v[10:11], v[10:11], v[16:17]
	s_delay_alu instid0(VALU_DEP_2) | instskip(SKIP_1) | instid1(VALU_DEP_3)
	v_add_f64 v[4:5], v[4:5], v[8:9]
	v_mul_f64 v[8:9], v[176:177], s[40:41]
	v_add_f64 v[6:7], v[6:7], v[10:11]
	s_delay_alu instid0(VALU_DEP_3) | instskip(SKIP_1) | instid1(VALU_DEP_3)
	v_add_f64 v[190:191], v[0:1], v[4:5]
	v_mul_f64 v[0:1], v[188:189], s[46:47]
	v_add_f64 v[2:3], v[2:3], v[6:7]
	v_fma_f64 v[6:7], v[72:73], s[24:25], v[18:19]
	v_mul_f64 v[4:5], v[186:187], s[46:47]
	v_fma_f64 v[10:11], v[45:46], s[12:13], v[8:9]
	s_delay_alu instid0(VALU_DEP_3) | instskip(SKIP_1) | instid1(VALU_DEP_4)
	v_add_f64 v[192:193], v[6:7], v[2:3]
	v_fma_f64 v[2:3], v[49:50], s[24:25], v[0:1]
	v_fma_f64 v[6:7], v[51:52], s[24:25], -v[4:5]
	v_fma_f64 v[0:1], v[49:50], s[24:25], -v[0:1]
	v_fma_f64 v[4:5], v[51:52], s[24:25], v[4:5]
	s_delay_alu instid0(VALU_DEP_4) | instskip(NEXT) | instid1(VALU_DEP_4)
	v_add_f64 v[2:3], v[2:3], v[200:201]
	v_add_f64 v[6:7], v[6:7], v[202:203]
	v_mul_f64 v[200:201], v[134:135], s[50:51]
	v_mul_f64 v[202:203], v[132:133], s[26:27]
	v_add_f64 v[0:1], v[0:1], v[204:205]
	v_add_f64 v[4:5], v[4:5], v[206:207]
	v_mul_f64 v[134:135], v[134:135], s[26:27]
	v_add_f64 v[2:3], v[10:11], v[2:3]
	v_mul_f64 v[10:11], v[174:175], s[40:41]
	s_delay_alu instid0(VALU_DEP_1) | instskip(NEXT) | instid1(VALU_DEP_1)
	v_fma_f64 v[12:13], v[47:48], s[12:13], -v[10:11]
	v_add_f64 v[6:7], v[12:13], v[6:7]
	v_mul_f64 v[12:13], v[168:169], s[58:59]
	s_delay_alu instid0(VALU_DEP_1) | instskip(NEXT) | instid1(VALU_DEP_1)
	v_fma_f64 v[14:15], v[41:42], s[22:23], v[12:13]
	v_add_f64 v[2:3], v[14:15], v[2:3]
	v_mul_f64 v[14:15], v[158:159], s[58:59]
	s_delay_alu instid0(VALU_DEP_1) | instskip(NEXT) | instid1(VALU_DEP_1)
	v_fma_f64 v[16:17], v[43:44], s[22:23], -v[14:15]
	v_add_f64 v[6:7], v[16:17], v[6:7]
	v_mul_f64 v[16:17], v[148:149], s[36:37]
	s_delay_alu instid0(VALU_DEP_1) | instskip(NEXT) | instid1(VALU_DEP_1)
	v_fma_f64 v[18:19], v[37:38], s[0:1], v[16:17]
	;; [unrolled: 8-line block ×3, first 2 shown]
	v_add_f64 v[2:3], v[98:99], v[2:3]
	v_mul_f64 v[98:99], v[138:139], s[34:35]
	s_delay_alu instid0(VALU_DEP_1) | instskip(NEXT) | instid1(VALU_DEP_1)
	v_fma_f64 v[194:195], v[31:32], s[18:19], -v[98:99]
	v_add_f64 v[6:7], v[194:195], v[6:7]
	v_fma_f64 v[194:195], v[33:34], s[14:15], v[198:199]
	s_delay_alu instid0(VALU_DEP_1) | instskip(SKIP_1) | instid1(VALU_DEP_1)
	v_add_f64 v[2:3], v[194:195], v[2:3]
	v_fma_f64 v[194:195], v[35:36], s[14:15], -v[200:201]
	v_add_f64 v[6:7], v[194:195], v[6:7]
	v_fma_f64 v[194:195], v[70:71], s[16:17], v[202:203]
	s_delay_alu instid0(VALU_DEP_1) | instskip(SKIP_1) | instid1(VALU_DEP_1)
	v_add_f64 v[194:195], v[194:195], v[2:3]
	v_mul_f64 v[2:3], v[130:131], s[26:27]
	v_fma_f64 v[196:197], v[72:73], s[16:17], -v[2:3]
	v_fma_f64 v[2:3], v[72:73], s[16:17], v[2:3]
	s_delay_alu instid0(VALU_DEP_2) | instskip(SKIP_2) | instid1(VALU_DEP_2)
	v_add_f64 v[196:197], v[196:197], v[6:7]
	v_fma_f64 v[6:7], v[45:46], s[12:13], -v[8:9]
	v_mul_f64 v[8:9], v[176:177], s[30:31]
	v_add_f64 v[0:1], v[6:7], v[0:1]
	v_fma_f64 v[6:7], v[47:48], s[12:13], v[10:11]
	s_delay_alu instid0(VALU_DEP_3) | instskip(NEXT) | instid1(VALU_DEP_2)
	v_fma_f64 v[10:11], v[45:46], s[10:11], v[8:9]
	v_add_f64 v[4:5], v[6:7], v[4:5]
	v_fma_f64 v[6:7], v[41:42], s[22:23], -v[12:13]
	s_delay_alu instid0(VALU_DEP_1) | instskip(SKIP_1) | instid1(VALU_DEP_1)
	v_add_f64 v[0:1], v[6:7], v[0:1]
	v_fma_f64 v[6:7], v[43:44], s[22:23], v[14:15]
	v_add_f64 v[4:5], v[6:7], v[4:5]
	v_fma_f64 v[6:7], v[37:38], s[0:1], -v[16:17]
	s_delay_alu instid0(VALU_DEP_1) | instskip(SKIP_1) | instid1(VALU_DEP_1)
	v_add_f64 v[0:1], v[6:7], v[0:1]
	v_fma_f64 v[6:7], v[39:40], s[0:1], v[18:19]
	v_add_f64 v[4:5], v[6:7], v[4:5]
	v_fma_f64 v[6:7], v[29:30], s[18:19], -v[22:23]
	s_delay_alu instid0(VALU_DEP_1) | instskip(SKIP_1) | instid1(VALU_DEP_1)
	v_add_f64 v[0:1], v[6:7], v[0:1]
	v_fma_f64 v[6:7], v[31:32], s[18:19], v[98:99]
	v_add_f64 v[4:5], v[6:7], v[4:5]
	v_fma_f64 v[6:7], v[33:34], s[14:15], -v[198:199]
	s_delay_alu instid0(VALU_DEP_1) | instskip(SKIP_1) | instid1(VALU_DEP_1)
	v_add_f64 v[0:1], v[6:7], v[0:1]
	v_fma_f64 v[6:7], v[35:36], s[14:15], v[200:201]
	v_add_f64 v[4:5], v[6:7], v[4:5]
	v_fma_f64 v[6:7], v[70:71], s[16:17], -v[202:203]
	s_delay_alu instid0(VALU_DEP_2) | instskip(NEXT) | instid1(VALU_DEP_2)
	v_add_f64 v[200:201], v[2:3], v[4:5]
	v_add_f64 v[198:199], v[6:7], v[0:1]
	v_mul_f64 v[0:1], v[188:189], s[48:49]
	v_mul_f64 v[4:5], v[186:187], s[48:49]
	s_delay_alu instid0(VALU_DEP_2) | instskip(NEXT) | instid1(VALU_DEP_2)
	v_fma_f64 v[2:3], v[49:50], s[0:1], v[0:1]
	v_fma_f64 v[6:7], v[51:52], s[0:1], -v[4:5]
	v_fma_f64 v[0:1], v[49:50], s[0:1], -v[0:1]
	s_delay_alu instid0(VALU_DEP_3) | instskip(NEXT) | instid1(VALU_DEP_3)
	v_add_f64 v[2:3], v[2:3], v[208:209]
	v_add_f64 v[6:7], v[6:7], v[210:211]
	s_delay_alu instid0(VALU_DEP_3) | instskip(NEXT) | instid1(VALU_DEP_3)
	v_add_f64 v[0:1], v[0:1], v[94:95]
	v_add_f64 v[2:3], v[10:11], v[2:3]
	v_mul_f64 v[10:11], v[174:175], s[30:31]
	s_delay_alu instid0(VALU_DEP_1) | instskip(NEXT) | instid1(VALU_DEP_1)
	v_fma_f64 v[12:13], v[47:48], s[10:11], -v[10:11]
	v_add_f64 v[6:7], v[12:13], v[6:7]
	v_mul_f64 v[12:13], v[168:169], s[50:51]
	s_delay_alu instid0(VALU_DEP_1) | instskip(NEXT) | instid1(VALU_DEP_1)
	v_fma_f64 v[14:15], v[41:42], s[14:15], v[12:13]
	v_add_f64 v[2:3], v[14:15], v[2:3]
	v_mul_f64 v[14:15], v[158:159], s[50:51]
	s_delay_alu instid0(VALU_DEP_1) | instskip(NEXT) | instid1(VALU_DEP_1)
	v_fma_f64 v[16:17], v[43:44], s[14:15], -v[14:15]
	v_add_f64 v[6:7], v[16:17], v[6:7]
	v_mul_f64 v[16:17], v[148:149], s[28:29]
	s_delay_alu instid0(VALU_DEP_1) | instskip(NEXT) | instid1(VALU_DEP_1)
	v_fma_f64 v[18:19], v[37:38], s[22:23], v[16:17]
	v_add_f64 v[2:3], v[18:19], v[2:3]
	v_mul_f64 v[18:19], v[142:143], s[28:29]
	s_delay_alu instid0(VALU_DEP_1) | instskip(NEXT) | instid1(VALU_DEP_1)
	v_fma_f64 v[22:23], v[39:40], s[22:23], -v[18:19]
	v_add_f64 v[6:7], v[22:23], v[6:7]
	v_mul_f64 v[22:23], v[140:141], s[46:47]
	v_mul_f64 v[140:141], v[130:131], s[54:55]
	s_delay_alu instid0(VALU_DEP_2) | instskip(NEXT) | instid1(VALU_DEP_1)
	v_fma_f64 v[98:99], v[29:30], s[24:25], v[22:23]
	v_add_f64 v[2:3], v[98:99], v[2:3]
	v_mul_f64 v[98:99], v[138:139], s[46:47]
	s_delay_alu instid0(VALU_DEP_1) | instskip(NEXT) | instid1(VALU_DEP_1)
	v_fma_f64 v[138:139], v[31:32], s[24:25], -v[98:99]
	v_add_f64 v[6:7], v[138:139], v[6:7]
	v_fma_f64 v[138:139], v[33:34], s[16:17], v[136:137]
	s_delay_alu instid0(VALU_DEP_1) | instskip(SKIP_1) | instid1(VALU_DEP_1)
	v_add_f64 v[2:3], v[138:139], v[2:3]
	v_fma_f64 v[138:139], v[35:36], s[16:17], -v[134:135]
	v_add_f64 v[6:7], v[138:139], v[6:7]
	v_mul_f64 v[138:139], v[132:133], s[54:55]
	s_delay_alu instid0(VALU_DEP_1) | instskip(NEXT) | instid1(VALU_DEP_1)
	v_fma_f64 v[130:131], v[70:71], s[12:13], v[138:139]
	v_add_f64 v[130:131], v[130:131], v[2:3]
	v_fma_f64 v[2:3], v[72:73], s[12:13], -v[140:141]
	s_delay_alu instid0(VALU_DEP_1) | instskip(SKIP_3) | instid1(VALU_DEP_3)
	v_add_f64 v[132:133], v[2:3], v[6:7]
	v_fma_f64 v[2:3], v[51:52], s[0:1], v[4:5]
	v_fma_f64 v[4:5], v[45:46], s[10:11], -v[8:9]
	v_fma_f64 v[6:7], v[72:73], s[12:13], v[140:141]
	v_add_f64 v[2:3], v[2:3], v[96:97]
	s_delay_alu instid0(VALU_DEP_3) | instskip(SKIP_1) | instid1(VALU_DEP_1)
	v_add_f64 v[0:1], v[4:5], v[0:1]
	v_fma_f64 v[4:5], v[47:48], s[10:11], v[10:11]
	v_add_f64 v[2:3], v[4:5], v[2:3]
	v_fma_f64 v[4:5], v[41:42], s[14:15], -v[12:13]
	s_delay_alu instid0(VALU_DEP_1) | instskip(SKIP_1) | instid1(VALU_DEP_1)
	v_add_f64 v[0:1], v[4:5], v[0:1]
	v_fma_f64 v[4:5], v[43:44], s[14:15], v[14:15]
	v_add_f64 v[2:3], v[4:5], v[2:3]
	v_fma_f64 v[4:5], v[37:38], s[22:23], -v[16:17]
	s_delay_alu instid0(VALU_DEP_1) | instskip(SKIP_1) | instid1(VALU_DEP_1)
	;; [unrolled: 5-line block ×4, first 2 shown]
	v_add_f64 v[0:1], v[4:5], v[0:1]
	v_fma_f64 v[4:5], v[35:36], s[16:17], v[134:135]
	v_add_f64 v[2:3], v[4:5], v[2:3]
	v_fma_f64 v[4:5], v[70:71], s[12:13], -v[138:139]
	s_delay_alu instid0(VALU_DEP_2) | instskip(NEXT) | instid1(VALU_DEP_2)
	v_add_f64 v[136:137], v[6:7], v[2:3]
	v_add_f64 v[134:135], v[4:5], v[0:1]
	scratch_load_b64 v[4:5], off, off offset:212 ; 8-byte Folded Reload
	v_fma_f64 v[0:1], v[49:50], s[10:11], -v[244:245]
	v_fma_f64 v[2:3], v[51:52], s[10:11], v[246:247]
	v_fma_f64 v[6:7], v[72:73], s[22:23], v[20:21]
	scratch_load_b32 v21, off, off offset:4 ; 4-byte Folded Reload
	v_add_f64 v[0:1], v[0:1], v[100:101]
	s_waitcnt vmcnt(1)
	v_add_f64 v[2:3], v[2:3], v[4:5]
	v_fma_f64 v[4:5], v[45:46], s[14:15], -v[248:249]
	s_delay_alu instid0(VALU_DEP_1) | instskip(SKIP_1) | instid1(VALU_DEP_1)
	v_add_f64 v[0:1], v[4:5], v[0:1]
	v_fma_f64 v[4:5], v[47:48], s[14:15], v[250:251]
	v_add_f64 v[2:3], v[4:5], v[2:3]
	v_fma_f64 v[4:5], v[41:42], s[24:25], -v[252:253]
	s_delay_alu instid0(VALU_DEP_1) | instskip(SKIP_1) | instid1(VALU_DEP_1)
	v_add_f64 v[0:1], v[4:5], v[0:1]
	v_fma_f64 v[4:5], v[43:44], s[24:25], v[254:255]
	v_add_f64 v[2:3], v[4:5], v[2:3]
	v_fma_f64 v[4:5], v[37:38], s[18:19], -v[53:54]
	s_delay_alu instid0(VALU_DEP_1) | instskip(SKIP_1) | instid1(VALU_DEP_1)
	v_add_f64 v[0:1], v[4:5], v[0:1]
	v_fma_f64 v[4:5], v[39:40], s[18:19], v[55:56]
	v_add_f64 v[2:3], v[4:5], v[2:3]
	v_fma_f64 v[4:5], v[29:30], s[12:13], -v[57:58]
	s_delay_alu instid0(VALU_DEP_1) | instskip(SKIP_1) | instid1(VALU_DEP_1)
	v_add_f64 v[0:1], v[4:5], v[0:1]
	v_fma_f64 v[4:5], v[31:32], s[12:13], v[59:60]
	v_add_f64 v[2:3], v[4:5], v[2:3]
	v_fma_f64 v[4:5], v[33:34], s[0:1], -v[61:62]
	s_delay_alu instid0(VALU_DEP_1) | instskip(SKIP_1) | instid1(VALU_DEP_1)
	v_add_f64 v[0:1], v[4:5], v[0:1]
	v_fma_f64 v[4:5], v[35:36], s[0:1], v[65:66]
	v_add_f64 v[2:3], v[4:5], v[2:3]
	v_fma_f64 v[4:5], v[70:71], s[22:23], -v[63:64]
	s_delay_alu instid0(VALU_DEP_2)
	v_add_f64 v[140:141], v[6:7], v[2:3]
	scratch_load_b64 v[2:3], off, off offset:204 ; 8-byte Folded Reload
	v_add_f64 v[138:139], v[4:5], v[0:1]
	scratch_load_b64 v[4:5], off, off offset:196 ; 8-byte Folded Reload
	v_fma_f64 v[0:1], v[49:50], s[18:19], -v[216:217]
	v_fma_f64 v[6:7], v[72:73], s[14:15], v[242:243]
	s_waitcnt vmcnt(1)
	s_delay_alu instid0(VALU_DEP_2) | instskip(SKIP_2) | instid1(VALU_DEP_1)
	v_add_f64 v[0:1], v[0:1], v[2:3]
	v_fma_f64 v[2:3], v[51:52], s[18:19], v[218:219]
	s_waitcnt vmcnt(0)
	v_add_f64 v[2:3], v[2:3], v[4:5]
	v_fma_f64 v[4:5], v[45:46], s[16:17], -v[220:221]
	s_delay_alu instid0(VALU_DEP_1) | instskip(SKIP_1) | instid1(VALU_DEP_1)
	v_add_f64 v[0:1], v[4:5], v[0:1]
	v_fma_f64 v[4:5], v[47:48], s[16:17], v[222:223]
	v_add_f64 v[2:3], v[4:5], v[2:3]
	v_fma_f64 v[4:5], v[41:42], s[0:1], -v[224:225]
	s_delay_alu instid0(VALU_DEP_1) | instskip(SKIP_1) | instid1(VALU_DEP_1)
	v_add_f64 v[0:1], v[4:5], v[0:1]
	v_fma_f64 v[4:5], v[43:44], s[0:1], v[226:227]
	v_add_f64 v[2:3], v[4:5], v[2:3]
	v_fma_f64 v[4:5], v[37:38], s[24:25], -v[228:229]
	s_delay_alu instid0(VALU_DEP_1) | instskip(SKIP_1) | instid1(VALU_DEP_1)
	v_add_f64 v[0:1], v[4:5], v[0:1]
	v_fma_f64 v[4:5], v[39:40], s[24:25], v[230:231]
	v_add_f64 v[2:3], v[4:5], v[2:3]
	v_fma_f64 v[4:5], v[29:30], s[10:11], -v[232:233]
	s_delay_alu instid0(VALU_DEP_1) | instskip(SKIP_1) | instid1(VALU_DEP_1)
	v_add_f64 v[0:1], v[4:5], v[0:1]
	v_fma_f64 v[4:5], v[31:32], s[10:11], v[234:235]
	v_add_f64 v[2:3], v[4:5], v[2:3]
	v_fma_f64 v[4:5], v[33:34], s[22:23], -v[236:237]
	s_delay_alu instid0(VALU_DEP_1) | instskip(SKIP_1) | instid1(VALU_DEP_1)
	v_add_f64 v[0:1], v[4:5], v[0:1]
	v_fma_f64 v[4:5], v[35:36], s[22:23], v[238:239]
	v_add_f64 v[2:3], v[4:5], v[2:3]
	v_fma_f64 v[4:5], v[70:71], s[14:15], -v[240:241]
	s_delay_alu instid0(VALU_DEP_2)
	v_add_f64 v[100:101], v[6:7], v[2:3]
	scratch_load_b64 v[2:3], off, off offset:188 ; 8-byte Folded Reload
	v_add_f64 v[98:99], v[4:5], v[0:1]
	scratch_load_b64 v[4:5], off, off offset:180 ; 8-byte Folded Reload
	v_fma_f64 v[0:1], v[49:50], s[22:23], -v[144:145]
	v_fma_f64 v[6:7], v[72:73], s[10:11], v[180:181]
	s_waitcnt vmcnt(1)
	s_delay_alu instid0(VALU_DEP_2) | instskip(SKIP_2) | instid1(VALU_DEP_1)
	v_add_f64 v[0:1], v[0:1], v[2:3]
	v_fma_f64 v[2:3], v[51:52], s[22:23], v[146:147]
	;; [unrolled: 39-line block ×3, first 2 shown]
	s_waitcnt vmcnt(0)
	v_add_f64 v[2:3], v[2:3], v[4:5]
	v_fma_f64 v[4:5], v[45:46], s[22:23], -v[74:75]
	s_delay_alu instid0(VALU_DEP_1) | instskip(SKIP_1) | instid1(VALU_DEP_1)
	v_add_f64 v[0:1], v[4:5], v[0:1]
	v_fma_f64 v[4:5], v[47:48], s[22:23], v[76:77]
	v_add_f64 v[2:3], v[4:5], v[2:3]
	v_fma_f64 v[4:5], v[41:42], s[18:19], -v[110:111]
	s_delay_alu instid0(VALU_DEP_1) | instskip(SKIP_1) | instid1(VALU_DEP_1)
	v_add_f64 v[0:1], v[4:5], v[0:1]
	v_fma_f64 v[4:5], v[43:44], s[18:19], v[112:113]
	;; [unrolled: 5-line block ×5, first 2 shown]
	v_add_f64 v[2:3], v[4:5], v[2:3]
	v_fma_f64 v[4:5], v[70:71], s[0:1], -v[126:127]
	s_delay_alu instid0(VALU_DEP_2) | instskip(NEXT) | instid1(VALU_DEP_2)
	v_add_f64 v[104:105], v[6:7], v[2:3]
	v_add_f64 v[102:103], v[4:5], v[0:1]
	s_clause 0x3
	scratch_load_b64 v[0:1], off, off offset:84
	scratch_load_b64 v[4:5], off, off offset:20
	;; [unrolled: 1-line block ×4, first 2 shown]
	s_waitcnt vmcnt(3)
	v_fma_f64 v[0:1], v[49:50], s[14:15], -v[0:1]
	s_waitcnt vmcnt(0)
	v_fma_f64 v[6:7], v[47:48], s[24:25], v[6:7]
	s_delay_alu instid0(VALU_DEP_2) | instskip(SKIP_3) | instid1(VALU_DEP_1)
	v_add_f64 v[0:1], v[0:1], v[4:5]
	scratch_load_b64 v[4:5], off, off offset:36 ; 8-byte Folded Reload
	v_fma_f64 v[2:3], v[51:52], s[14:15], v[2:3]
	s_waitcnt vmcnt(0)
	v_add_f64 v[2:3], v[2:3], v[4:5]
	scratch_load_b64 v[4:5], off, off offset:108 ; 8-byte Folded Reload
	v_add_f64 v[2:3], v[6:7], v[2:3]
	scratch_load_b64 v[6:7], off, off offset:132 ; 8-byte Folded Reload
	s_waitcnt vmcnt(1)
	v_fma_f64 v[4:5], v[45:46], s[24:25], -v[4:5]
	s_delay_alu instid0(VALU_DEP_1) | instskip(SKIP_3) | instid1(VALU_DEP_1)
	v_add_f64 v[0:1], v[4:5], v[0:1]
	scratch_load_b64 v[4:5], off, off offset:124 ; 8-byte Folded Reload
	s_waitcnt vmcnt(1)
	v_fma_f64 v[6:7], v[43:44], s[12:13], v[6:7]
	v_add_f64 v[2:3], v[6:7], v[2:3]
	scratch_load_b64 v[6:7], off, off offset:148 ; 8-byte Folded Reload
	s_waitcnt vmcnt(1)
	v_fma_f64 v[4:5], v[41:42], s[12:13], -v[4:5]
	s_delay_alu instid0(VALU_DEP_1) | instskip(SKIP_3) | instid1(VALU_DEP_1)
	v_add_f64 v[0:1], v[4:5], v[0:1]
	scratch_load_b64 v[4:5], off, off offset:140 ; 8-byte Folded Reload
	s_waitcnt vmcnt(1)
	v_fma_f64 v[6:7], v[39:40], s[16:17], v[6:7]
	;; [unrolled: 9-line block ×3, first 2 shown]
	v_add_f64 v[2:3], v[6:7], v[2:3]
	scratch_load_b64 v[6:7], off, off offset:172 ; 8-byte Folded Reload
	s_waitcnt vmcnt(1)
	v_fma_f64 v[4:5], v[29:30], s[22:23], -v[4:5]
	s_delay_alu instid0(VALU_DEP_1) | instskip(SKIP_3) | instid1(VALU_DEP_2)
	v_add_f64 v[0:1], v[4:5], v[0:1]
	v_fma_f64 v[4:5], v[33:34], s[10:11], -v[67:68]
	s_waitcnt vmcnt(0)
	v_fma_f64 v[6:7], v[35:36], s[10:11], v[6:7]
	v_add_f64 v[0:1], v[4:5], v[0:1]
	v_fma_f64 v[4:5], v[70:71], s[18:19], -v[90:91]
	s_delay_alu instid0(VALU_DEP_3) | instskip(SKIP_1) | instid1(VALU_DEP_3)
	v_add_f64 v[2:3], v[6:7], v[2:3]
	v_fma_f64 v[6:7], v[72:73], s[18:19], v[92:93]
	v_add_f64 v[30:31], v[4:5], v[0:1]
	scratch_load_b32 v1, off, off           ; 4-byte Folded Reload
	v_add_f64 v[32:33], v[6:7], v[2:3]
	v_mul_u32_u24_e32 v0, 0x770, v21
	s_waitcnt vmcnt(0)
	v_lshlrev_b32_e32 v29, 4, v1
	s_delay_alu instid0(VALU_DEP_1)
	v_add3_u32 v0, 0, v0, v29
	ds_store_b128 v0, v[182:185]
	ds_store_b128 v0, v[106:109] offset:112
	ds_store_b128 v0, v[86:89] offset:224
	;; [unrolled: 1-line block ×16, first 2 shown]
	s_waitcnt lgkmcnt(0)
	s_waitcnt_vscnt null, 0x0
	s_barrier
	buffer_gl0_inv
	s_and_saveexec_b32 s21, s7
	s_cbranch_execz .LBB0_48
; %bb.47:
	v_mul_lo_u16 v0, v21, 31
	s_movk_i32 s7, 0x1000
	s_movk_i32 s21, 0xff0
	s_delay_alu instid0(VALU_DEP_1) | instskip(NEXT) | instid1(VALU_DEP_1)
	v_lshrrev_b16 v0, 9, v0
	v_mul_lo_u16 v0, v0, 17
	s_delay_alu instid0(VALU_DEP_1) | instskip(NEXT) | instid1(VALU_DEP_1)
	v_sub_nc_u16 v0, v21, v0
	v_and_b32_e32 v79, 0xff, v0
	v_mul_u32_u24_e32 v0, 0x70, v21
	s_delay_alu instid0(VALU_DEP_2) | instskip(NEXT) | instid1(VALU_DEP_2)
	v_lshlrev_b32_e32 v24, 8, v79
	v_add3_u32 v0, 0, v0, v29
	s_clause 0x7
	global_load_b128 v[1:4], v24, s[38:39] offset:112
	global_load_b128 v[17:20], v24, s[38:39] offset:128
	;; [unrolled: 1-line block ×8, first 2 shown]
	ds_load_b128 v[38:41], v0 offset:15232
	ds_load_b128 v[42:45], v0 offset:17136
	;; [unrolled: 1-line block ×4, first 2 shown]
	s_waitcnt vmcnt(7) lgkmcnt(3)
	v_mul_f64 v[22:23], v[40:41], v[3:4]
	v_mul_f64 v[3:4], v[38:39], v[3:4]
	s_waitcnt vmcnt(6) lgkmcnt(2)
	v_mul_f64 v[54:55], v[44:45], v[19:20]
	v_mul_f64 v[19:20], v[42:43], v[19:20]
	s_waitcnt vmcnt(5) lgkmcnt(1)
	v_mul_f64 v[56:57], v[48:49], v[15:16]
	v_fma_f64 v[76:77], v[38:39], v[1:2], v[22:23]
	v_fma_f64 v[80:81], v[40:41], v[1:2], -v[3:4]
	ds_load_b128 v[1:4], v0 offset:19040
	ds_load_b128 v[38:41], v0 offset:20944
	v_mul_f64 v[22:23], v[46:47], v[15:16]
	v_fma_f64 v[82:83], v[42:43], v[17:18], v[54:55]
	v_fma_f64 v[86:87], v[44:45], v[17:18], -v[19:20]
	global_load_b128 v[15:18], v24, s[38:39] offset:48
	v_fma_f64 v[92:93], v[46:47], v[13:14], v[56:57]
	s_waitcnt vmcnt(4) lgkmcnt(2)
	v_mul_f64 v[44:45], v[52:53], v[7:8]
	v_mul_f64 v[7:8], v[50:51], v[7:8]
	s_waitcnt lgkmcnt(1)
	v_mul_f64 v[19:20], v[3:4], v[11:12]
	v_mul_f64 v[42:43], v[1:2], v[11:12]
	v_fma_f64 v[94:95], v[48:49], v[13:14], -v[22:23]
	global_load_b128 v[11:14], v24, s[38:39] offset:192
	v_fma_f64 v[104:105], v[50:51], v[5:6], v[44:45]
	v_fma_f64 v[106:107], v[52:53], v[5:6], -v[7:8]
	ds_load_b128 v[5:8], v0 offset:7616
	v_fma_f64 v[96:97], v[1:2], v[9:10], v[19:20]
	v_fma_f64 v[98:99], v[3:4], v[9:10], -v[42:43]
	s_waitcnt vmcnt(4) lgkmcnt(1)
	v_mul_f64 v[9:10], v[40:41], v[27:28]
	v_mul_f64 v[19:20], v[38:39], v[27:28]
	ds_load_b128 v[1:4], v0 offset:9520
	s_waitcnt vmcnt(3) lgkmcnt(0)
	v_mul_f64 v[42:43], v[3:4], v[32:33]
	v_mul_f64 v[32:33], v[1:2], v[32:33]
	v_fma_f64 v[100:101], v[38:39], v[25:26], v[9:10]
	v_fma_f64 v[102:103], v[40:41], v[25:26], -v[19:20]
	global_load_b128 v[25:28], v24, s[38:39] offset:32
	ds_load_b128 v[38:41], v0 offset:22848
	v_fma_f64 v[112:113], v[1:2], v[30:31], v[42:43]
	v_fma_f64 v[200:201], v[3:4], v[30:31], -v[32:33]
	ds_load_b128 v[1:4], v0 offset:24752
	global_load_b128 v[29:32], v24, s[38:39] offset:208
	s_waitcnt vmcnt(4) lgkmcnt(1)
	v_mul_f64 v[9:10], v[40:41], v[36:37]
	v_mul_f64 v[19:20], v[38:39], v[36:37]
	s_delay_alu instid0(VALU_DEP_2) | instskip(NEXT) | instid1(VALU_DEP_2)
	v_fma_f64 v[108:109], v[38:39], v[34:35], v[9:10]
	v_fma_f64 v[110:111], v[40:41], v[34:35], -v[19:20]
	s_waitcnt vmcnt(3)
	v_mul_f64 v[9:10], v[7:8], v[17:18]
	v_mul_f64 v[17:18], v[5:6], v[17:18]
	s_delay_alu instid0(VALU_DEP_2) | instskip(SKIP_3) | instid1(VALU_DEP_4)
	v_fma_f64 v[206:207], v[5:6], v[15:16], v[9:10]
	s_waitcnt vmcnt(2) lgkmcnt(0)
	v_mul_f64 v[9:10], v[3:4], v[13:14]
	v_mul_f64 v[13:14], v[1:2], v[13:14]
	v_fma_f64 v[216:217], v[7:8], v[15:16], -v[17:18]
	ds_load_b128 v[5:8], v0 offset:5712
	v_fma_f64 v[70:71], v[1:2], v[11:12], v[9:10]
	v_fma_f64 v[72:73], v[3:4], v[11:12], -v[13:14]
	ds_load_b128 v[9:12], v0 offset:3808
	s_waitcnt vmcnt(1) lgkmcnt(1)
	v_mul_f64 v[1:2], v[7:8], v[27:28]
	v_mul_f64 v[3:4], v[5:6], v[27:28]
	s_delay_alu instid0(VALU_DEP_2) | instskip(NEXT) | instid1(VALU_DEP_2)
	v_fma_f64 v[222:223], v[5:6], v[25:26], v[1:2]
	v_fma_f64 v[224:225], v[7:8], v[25:26], -v[3:4]
	ds_load_b128 v[1:4], v0 offset:26656
	ds_load_b128 v[13:16], v0 offset:28560
	s_waitcnt vmcnt(0) lgkmcnt(1)
	v_mul_f64 v[5:6], v[3:4], v[31:32]
	s_delay_alu instid0(VALU_DEP_1) | instskip(SKIP_1) | instid1(VALU_DEP_1)
	v_fma_f64 v[218:219], v[1:2], v[29:30], v[5:6]
	v_mul_f64 v[1:2], v[1:2], v[31:32]
	v_fma_f64 v[220:221], v[3:4], v[29:30], -v[1:2]
	s_clause 0x1
	global_load_b128 v[5:8], v24, s[38:39] offset:16
	global_load_b128 v[1:4], v24, s[38:39]
	s_waitcnt vmcnt(1)
	v_mul_f64 v[17:18], v[11:12], v[7:8]
	v_mul_f64 v[7:8], v[9:10], v[7:8]
	s_delay_alu instid0(VALU_DEP_2) | instskip(NEXT) | instid1(VALU_DEP_2)
	v_fma_f64 v[234:235], v[9:10], v[5:6], v[17:18]
	v_fma_f64 v[240:241], v[11:12], v[5:6], -v[7:8]
	s_clause 0x1
	global_load_b128 v[9:12], v24, s[38:39] offset:224
	global_load_b128 v[5:8], v24, s[38:39] offset:240
	s_waitcnt vmcnt(1) lgkmcnt(0)
	v_mul_f64 v[17:18], v[15:16], v[11:12]
	v_mul_f64 v[11:12], v[13:14], v[11:12]
	s_delay_alu instid0(VALU_DEP_2) | instskip(NEXT) | instid1(VALU_DEP_2)
	v_fma_f64 v[230:231], v[13:14], v[9:10], v[17:18]
	v_fma_f64 v[232:233], v[15:16], v[9:10], -v[11:12]
	ds_load_b128 v[9:12], v0 offset:1904
	ds_load_b128 v[13:16], v0
	s_waitcnt lgkmcnt(1)
	v_mul_f64 v[17:18], v[11:12], v[3:4]
	v_mul_f64 v[3:4], v[9:10], v[3:4]
	s_delay_alu instid0(VALU_DEP_2) | instskip(NEXT) | instid1(VALU_DEP_2)
	v_fma_f64 v[246:247], v[9:10], v[1:2], v[17:18]
	v_fma_f64 v[248:249], v[11:12], v[1:2], -v[3:4]
	ds_load_b128 v[0:3], v0 offset:30464
	s_waitcnt vmcnt(0) lgkmcnt(0)
	v_mul_f64 v[9:10], v[2:3], v[7:8]
	s_delay_alu instid0(VALU_DEP_1) | instskip(SKIP_1) | instid1(VALU_DEP_1)
	v_fma_f64 v[242:243], v[0:1], v[5:6], v[9:10]
	v_mul_f64 v[0:1], v[0:1], v[7:8]
	v_fma_f64 v[244:245], v[2:3], v[5:6], -v[0:1]
	v_mul_lo_u32 v0, v69, v79
	s_delay_alu instid0(VALU_DEP_1) | instskip(SKIP_2) | instid1(VALU_DEP_3)
	v_lshrrev_b32_e32 v1, 4, v0
	v_and_b32_e32 v2, 0xff, v0
	v_lshrrev_b32_e32 v0, 12, v0
	v_and_or_b32 v1, 0xff0, v1, s7
	s_delay_alu instid0(VALU_DEP_3) | instskip(NEXT) | instid1(VALU_DEP_3)
	v_lshlrev_b32_e32 v4, 4, v2
	v_and_or_b32 v8, v0, s21, 0x2000
	s_clause 0x2
	global_load_b128 v[0:3], v1, s[8:9]
	global_load_b128 v[4:7], v4, s[8:9]
	;; [unrolled: 1-line block ×3, first 2 shown]
	s_waitcnt vmcnt(1)
	v_mul_f64 v[17:18], v[6:7], v[2:3]
	v_mul_f64 v[2:3], v[4:5], v[2:3]
	s_delay_alu instid0(VALU_DEP_2) | instskip(NEXT) | instid1(VALU_DEP_2)
	v_fma_f64 v[134:135], v[4:5], v[0:1], -v[17:18]
	v_fma_f64 v[136:137], v[0:1], v[6:7], v[2:3]
	v_add_nc_u32_e32 v0, 0x110, v79
	v_add_nc_u32_e32 v1, 0xff, v79
	s_delay_alu instid0(VALU_DEP_2) | instskip(NEXT) | instid1(VALU_DEP_2)
	v_mul_lo_u32 v0, v69, v0
	v_mul_lo_u32 v12, v69, v1
	s_delay_alu instid0(VALU_DEP_2) | instskip(SKIP_2) | instid1(VALU_DEP_3)
	v_and_b32_e32 v1, 0xff, v0
	v_lshrrev_b32_e32 v2, 4, v0
	v_lshrrev_b32_e32 v0, 12, v0
	v_lshlrev_b32_e32 v4, 4, v1
	s_delay_alu instid0(VALU_DEP_3) | instskip(NEXT) | instid1(VALU_DEP_3)
	v_and_or_b32 v1, 0xff0, v2, s7
	v_and_or_b32 v17, v0, s21, 0x2000
	v_lshrrev_b32_e32 v0, 12, v12
	s_delay_alu instid0(VALU_DEP_1)
	v_and_or_b32 v21, v0, s21, 0x2000
	s_clause 0x3
	global_load_b128 v[0:3], v1, s[8:9]
	global_load_b128 v[4:7], v4, s[8:9]
	global_load_b128 v[17:20], v17, s[8:9]
	global_load_b128 v[24:27], v21, s[8:9]
	s_waitcnt vmcnt(2)
	v_mul_f64 v[28:29], v[6:7], v[2:3]
	v_mul_f64 v[2:3], v[4:5], v[2:3]
	s_delay_alu instid0(VALU_DEP_2) | instskip(NEXT) | instid1(VALU_DEP_2)
	v_fma_f64 v[138:139], v[4:5], v[0:1], -v[28:29]
	v_fma_f64 v[144:145], v[6:7], v[0:1], v[2:3]
	v_and_b32_e32 v0, 0xff, v12
	v_lshrrev_b32_e32 v1, 4, v12
	s_delay_alu instid0(VALU_DEP_2) | instskip(NEXT) | instid1(VALU_DEP_2)
	v_lshlrev_b32_e32 v0, 4, v0
	v_and_or_b32 v4, 0xff0, v1, s7
	s_clause 0x1
	global_load_b128 v[0:3], v0, s[8:9]
	global_load_b128 v[4:7], v4, s[8:9]
	s_waitcnt vmcnt(0)
	v_mul_f64 v[28:29], v[2:3], v[6:7]
	s_delay_alu instid0(VALU_DEP_1) | instskip(SKIP_1) | instid1(VALU_DEP_1)
	v_fma_f64 v[146:147], v[0:1], v[4:5], -v[28:29]
	v_mul_f64 v[0:1], v[0:1], v[6:7]
	v_fma_f64 v[148:149], v[2:3], v[4:5], v[0:1]
	v_add_nc_u32_e32 v0, 0xee, v79
	v_add_nc_u32_e32 v1, 0xdd, v79
	s_delay_alu instid0(VALU_DEP_2) | instskip(NEXT) | instid1(VALU_DEP_2)
	v_mul_lo_u32 v0, v69, v0
	v_mul_lo_u32 v12, v69, v1
	s_delay_alu instid0(VALU_DEP_2) | instskip(SKIP_2) | instid1(VALU_DEP_3)
	v_and_b32_e32 v1, 0xff, v0
	v_lshrrev_b32_e32 v2, 4, v0
	v_lshrrev_b32_e32 v0, 12, v0
	v_lshlrev_b32_e32 v4, 4, v1
	s_delay_alu instid0(VALU_DEP_3) | instskip(NEXT) | instid1(VALU_DEP_3)
	v_and_or_b32 v1, 0xff0, v2, s7
	v_and_or_b32 v21, v0, s21, 0x2000
	v_lshrrev_b32_e32 v0, 12, v12
	s_delay_alu instid0(VALU_DEP_1)
	v_and_or_b32 v22, v0, s21, 0x2000
	s_clause 0x3
	global_load_b128 v[0:3], v1, s[8:9]
	global_load_b128 v[4:7], v4, s[8:9]
	global_load_b128 v[28:31], v21, s[8:9]
	global_load_b128 v[32:35], v22, s[8:9]
	s_waitcnt vmcnt(2)
	v_mul_f64 v[36:37], v[6:7], v[2:3]
	v_mul_f64 v[2:3], v[4:5], v[2:3]
	s_delay_alu instid0(VALU_DEP_2) | instskip(NEXT) | instid1(VALU_DEP_2)
	v_fma_f64 v[150:151], v[4:5], v[0:1], -v[36:37]
	v_fma_f64 v[152:153], v[6:7], v[0:1], v[2:3]
	v_and_b32_e32 v0, 0xff, v12
	v_lshrrev_b32_e32 v1, 4, v12
	s_delay_alu instid0(VALU_DEP_2) | instskip(NEXT) | instid1(VALU_DEP_2)
	v_lshlrev_b32_e32 v0, 4, v0
	v_and_or_b32 v4, 0xff0, v1, s7
	s_clause 0x1
	global_load_b128 v[0:3], v0, s[8:9]
	global_load_b128 v[4:7], v4, s[8:9]
	s_waitcnt vmcnt(0)
	v_mul_f64 v[36:37], v[2:3], v[6:7]
	s_delay_alu instid0(VALU_DEP_1) | instskip(SKIP_1) | instid1(VALU_DEP_1)
	v_fma_f64 v[154:155], v[0:1], v[4:5], -v[36:37]
	v_mul_f64 v[0:1], v[0:1], v[6:7]
	;; [unrolled: 41-line block ×7, first 2 shown]
	v_fma_f64 v[196:197], v[2:3], v[4:5], v[0:1]
	v_add_nc_u32_e32 v0, 34, v79
	v_add_nc_u32_e32 v1, 17, v79
	s_delay_alu instid0(VALU_DEP_2) | instskip(NEXT) | instid1(VALU_DEP_2)
	v_mul_lo_u32 v0, v69, v0
	v_mul_lo_u32 v12, v69, v1
	s_delay_alu instid0(VALU_DEP_2) | instskip(SKIP_2) | instid1(VALU_DEP_3)
	v_and_b32_e32 v1, 0xff, v0
	v_lshrrev_b32_e32 v2, 4, v0
	v_lshrrev_b32_e32 v0, 12, v0
	v_lshlrev_b32_e32 v4, 4, v1
	s_delay_alu instid0(VALU_DEP_3) | instskip(NEXT) | instid1(VALU_DEP_3)
	v_and_or_b32 v1, 0xff0, v2, s7
	v_and_or_b32 v21, v0, s21, 0x2000
	v_lshrrev_b32_e32 v0, 12, v12
	s_delay_alu instid0(VALU_DEP_1)
	v_and_or_b32 v22, v0, s21, 0x2000
	s_clause 0x3
	global_load_b128 v[0:3], v1, s[8:9]
	global_load_b128 v[4:7], v4, s[8:9]
	global_load_b128 v[118:121], v21, s[8:9]
	global_load_b128 v[130:133], v22, s[8:9]
	v_mul_f64 v[21:22], v[170:171], v[50:51]
	s_delay_alu instid0(VALU_DEP_1) | instskip(SKIP_1) | instid1(VALU_DEP_1)
	v_fma_f64 v[210:211], v[48:49], v[172:173], v[21:22]
	v_mul_f64 v[21:22], v[172:173], v[50:51]
	v_fma_f64 v[208:209], v[48:49], v[170:171], -v[21:22]
	v_mul_f64 v[49:50], v[184:185], v[62:63]
	v_add_f64 v[21:22], v[248:249], -v[244:245]
	s_waitcnt vmcnt(2)
	v_mul_f64 v[140:141], v[6:7], v[2:3]
	v_mul_f64 v[2:3], v[4:5], v[2:3]
	s_delay_alu instid0(VALU_DEP_2) | instskip(NEXT) | instid1(VALU_DEP_2)
	v_fma_f64 v[198:199], v[4:5], v[0:1], -v[140:141]
	v_fma_f64 v[202:203], v[6:7], v[0:1], v[2:3]
	v_and_b32_e32 v0, 0xff, v12
	v_lshrrev_b32_e32 v1, 4, v12
	s_delay_alu instid0(VALU_DEP_2) | instskip(NEXT) | instid1(VALU_DEP_2)
	v_lshlrev_b32_e32 v0, 4, v0
	v_and_or_b32 v4, 0xff0, v1, s7
	s_clause 0x1
	global_load_b128 v[0:3], v0, s[8:9]
	global_load_b128 v[4:7], v4, s[8:9]
	s_waitcnt vmcnt(0)
	v_mul_f64 v[140:141], v[2:3], v[6:7]
	s_delay_alu instid0(VALU_DEP_1) | instskip(SKIP_2) | instid1(VALU_DEP_2)
	v_fma_f64 v[204:205], v[0:1], v[4:5], -v[140:141]
	v_mul_f64 v[0:1], v[0:1], v[6:7]
	v_mul_f64 v[6:7], v[148:149], v[26:27]
	v_fma_f64 v[0:1], v[2:3], v[4:5], v[0:1]
	v_mul_f64 v[2:3], v[10:11], v[134:135]
	s_delay_alu instid0(VALU_DEP_3) | instskip(SKIP_2) | instid1(VALU_DEP_4)
	v_fma_f64 v[88:89], v[24:25], v[146:147], -v[6:7]
	v_mul_f64 v[4:5], v[138:139], v[19:20]
	v_add_f64 v[6:7], v[104:105], -v[100:101]
	v_fma_f64 v[2:3], v[8:9], v[136:137], v[2:3]
	s_delay_alu instid0(VALU_DEP_3) | instskip(SKIP_3) | instid1(VALU_DEP_2)
	v_fma_f64 v[74:75], v[17:18], v[144:145], v[4:5]
	scratch_store_b64 off, v[2:3], off offset:140 ; 8-byte Folded Spill
	v_mul_f64 v[2:3], v[10:11], v[136:137]
	v_mul_f64 v[10:11], v[152:153], v[30:31]
	v_fma_f64 v[2:3], v[8:9], v[134:135], -v[2:3]
	s_delay_alu instid0(VALU_DEP_2)
	v_fma_f64 v[236:237], v[28:29], v[150:151], -v[10:11]
	v_mul_f64 v[10:11], v[150:151], v[30:31]
	v_mul_f64 v[8:9], v[146:147], v[26:27]
	v_add_f64 v[134:135], v[216:217], v[72:73]
	v_add_f64 v[146:147], v[112:113], v[108:109]
	;; [unrolled: 1-line block ×3, first 2 shown]
	scratch_store_b64 off, v[2:3], off offset:132 ; 8-byte Folded Spill
	v_mul_f64 v[2:3], v[144:145], v[19:20]
	v_fma_f64 v[238:239], v[28:29], v[152:153], v[10:11]
	v_mul_f64 v[10:11], v[156:157], v[34:35]
	v_fma_f64 v[90:91], v[24:25], v[148:149], v[8:9]
	v_add_f64 v[19:20], v[222:223], -v[218:219]
	v_add_f64 v[8:9], v[200:201], -v[110:111]
	v_add_f64 v[144:145], v[106:107], v[102:103]
	v_add_f64 v[152:153], v[94:95], v[98:99]
	v_fma_f64 v[84:85], v[17:18], v[138:139], -v[2:3]
	v_add_f64 v[17:18], v[224:225], -v[220:221]
	v_fma_f64 v[24:25], v[32:33], v[154:155], -v[10:11]
	v_mul_f64 v[10:11], v[154:155], v[34:35]
	v_add_f64 v[138:139], v[200:201], v[110:111]
	v_add_f64 v[154:155], v[92:93], v[96:97]
	v_mul_f64 v[140:141], v[8:9], s[34:35]
	v_mul_f64 v[172:173], v[17:18], s[50:51]
	v_fma_f64 v[26:27], v[32:33], v[156:157], v[10:11]
	v_mul_f64 v[10:11], v[160:161], v[38:39]
	v_add_f64 v[156:157], v[76:77], v[82:83]
	s_delay_alu instid0(VALU_DEP_2) | instskip(SKIP_1) | instid1(VALU_DEP_1)
	v_fma_f64 v[28:29], v[36:37], v[158:159], -v[10:11]
	v_mul_f64 v[10:11], v[158:159], v[38:39]
	v_fma_f64 v[30:31], v[36:37], v[160:161], v[10:11]
	v_mul_f64 v[10:11], v[164:165], v[42:43]
	v_mul_f64 v[36:37], v[174:175], v[54:55]
	s_delay_alu instid0(VALU_DEP_2) | instskip(SKIP_1) | instid1(VALU_DEP_3)
	v_fma_f64 v[67:68], v[40:41], v[162:163], -v[10:11]
	v_mul_f64 v[10:11], v[162:163], v[42:43]
	v_fma_f64 v[212:213], v[52:53], v[176:177], v[36:37]
	s_delay_alu instid0(VALU_DEP_2) | instskip(SKIP_4) | instid1(VALU_DEP_4)
	v_fma_f64 v[65:66], v[40:41], v[164:165], v[10:11]
	v_mul_f64 v[10:11], v[166:167], v[46:47]
	v_mul_f64 v[41:42], v[176:177], v[54:55]
	;; [unrolled: 1-line block ×4, first 2 shown]
	v_fma_f64 v[162:163], v[44:45], v[168:169], v[10:11]
	v_mul_f64 v[10:11], v[168:169], v[46:47]
	v_mul_f64 v[47:48], v[182:183], v[62:63]
	v_fma_f64 v[214:215], v[52:53], v[174:175], -v[41:42]
	v_mul_f64 v[51:52], v[198:199], v[120:121]
	v_add_f64 v[168:169], v[76:77], -v[82:83]
	v_mul_f64 v[41:42], v[8:9], s[36:37]
	v_fma_f64 v[142:143], v[44:45], v[166:167], -v[10:11]
	v_fma_f64 v[2:3], v[60:61], v[184:185], v[47:48]
	v_mul_f64 v[43:44], v[178:179], v[58:59]
	v_mul_f64 v[45:46], v[180:181], v[58:59]
	v_add_f64 v[10:11], v[112:113], -v[108:109]
	v_add_f64 v[166:167], v[106:107], -v[102:103]
	v_mul_f64 v[164:165], v[168:169], s[48:49]
	v_mul_f64 v[47:48], v[17:18], s[40:41]
	scratch_store_b64 off, v[2:3], off offset:640 ; 8-byte Folded Spill
	v_fma_f64 v[2:3], v[60:61], v[182:183], -v[49:50]
	v_fma_f64 v[228:229], v[56:57], v[180:181], v[43:44]
	v_fma_f64 v[226:227], v[56:57], v[178:179], -v[45:46]
	v_add_f64 v[57:58], v[246:247], -v[242:243]
	v_mul_f64 v[184:185], v[166:167], s[52:53]
	v_mul_f64 v[250:251], v[166:167], s[30:31]
	;; [unrolled: 1-line block ×5, first 2 shown]
	scratch_store_b64 off, v[2:3], off offset:632 ; 8-byte Folded Spill
	v_fma_f64 v[2:3], v[118:119], v[202:203], v[51:52]
	v_mul_f64 v[51:52], v[202:203], v[120:121]
	v_mul_f64 v[202:203], v[21:22], s[42:43]
	;; [unrolled: 1-line block ×5, first 2 shown]
	scratch_store_b64 off, v[2:3], off offset:464 ; 8-byte Folded Spill
	v_fma_f64 v[2:3], v[118:119], v[198:199], -v[51:52]
	v_mul_f64 v[51:52], v[204:205], v[132:133]
	v_mul_f64 v[198:199], v[19:20], s[28:29]
	scratch_store_b64 off, v[2:3], off offset:456 ; 8-byte Folded Spill
	v_fma_f64 v[2:3], v[130:131], v[0:1], v[51:52]
	v_mul_f64 v[0:1], v[0:1], v[132:133]
	v_add_f64 v[132:133], v[222:223], v[218:219]
	s_delay_alu instid0(VALU_DEP_2) | instskip(SKIP_3) | instid1(VALU_DEP_1)
	v_fma_f64 v[0:1], v[130:131], v[204:205], -v[0:1]
	v_add_f64 v[130:131], v[224:225], v[220:221]
	scratch_store_b64 off, v[0:1], off offset:204 ; 8-byte Folded Spill
	v_mul_f64 v[0:1], v[186:187], v[116:117]
	v_fma_f64 v[0:1], v[114:115], v[188:189], v[0:1]
	scratch_store_b64 off, v[0:1], off offset:156 ; 8-byte Folded Spill
	v_mul_f64 v[0:1], v[188:189], v[116:117]
	v_mul_f64 v[188:189], v[8:9], s[56:57]
	s_delay_alu instid0(VALU_DEP_2) | instskip(SKIP_3) | instid1(VALU_DEP_1)
	v_fma_f64 v[0:1], v[114:115], v[186:187], -v[0:1]
	v_mul_f64 v[186:187], v[6:7], s[52:53]
	scratch_store_b64 off, v[0:1], off offset:148 ; 8-byte Folded Spill
	v_mul_f64 v[0:1], v[190:191], v[124:125]
	v_fma_f64 v[0:1], v[122:123], v[192:193], v[0:1]
	scratch_store_b64 off, v[0:1], off offset:124 ; 8-byte Folded Spill
	v_mul_f64 v[0:1], v[192:193], v[124:125]
	v_add_f64 v[124:125], v[240:241], v[232:233]
	s_delay_alu instid0(VALU_DEP_2) | instskip(SKIP_4) | instid1(VALU_DEP_1)
	v_fma_f64 v[0:1], v[122:123], v[190:191], -v[0:1]
	v_add_f64 v[122:123], v[248:249], v[244:245]
	v_mul_f64 v[190:191], v[10:11], s[56:57]
	scratch_store_b64 off, v[0:1], off offset:116 ; 8-byte Folded Spill
	v_mul_f64 v[0:1], v[194:195], v[128:129]
	v_fma_f64 v[0:1], v[126:127], v[196:197], v[0:1]
	scratch_store_b64 off, v[2:3], off offset:212 ; 8-byte Folded Spill
	v_dual_mov_b32 v2, v234 :: v_dual_mov_b32 v3, v235
	v_add_f64 v[234:235], v[240:241], -v[232:233]
	s_delay_alu instid0(VALU_DEP_2)
	v_add_f64 v[63:64], v[2:3], -v[230:231]
	scratch_store_b64 off, v[0:1], off offset:108 ; 8-byte Folded Spill
	v_mul_f64 v[0:1], v[196:197], v[128:129]
	v_add_f64 v[128:129], v[2:3], v[230:231]
	v_mul_f64 v[196:197], v[17:18], s[28:29]
	v_mul_f64 v[174:175], v[234:235], s[56:57]
	;; [unrolled: 1-line block ×5, first 2 shown]
	v_fma_f64 v[0:1], v[126:127], v[194:195], -v[0:1]
	s_clause 0x2
	scratch_store_b64 off, v[0:1], off offset:100
	scratch_store_b64 off, v[242:243], off offset:172
	;; [unrolled: 1-line block ×3, first 2 shown]
	v_mul_f64 v[0:1], v[57:58], s[36:37]
	s_clause 0x3
	scratch_store_b64 off, v[244:245], off offset:164
	scratch_store_b64 off, v[248:249], off offset:232
	;; [unrolled: 1-line block ×4, first 2 shown]
	v_mul_f64 v[2:3], v[234:235], s[42:43]
	v_fma_f64 v[51:52], v[124:125], s[14:15], v[4:5]
	v_add_f64 v[126:127], v[246:247], v[242:243]
	v_mul_f64 v[242:243], v[63:64], s[34:35]
	v_mul_f64 v[230:231], v[21:22], s[40:41]
	;; [unrolled: 1-line block ×4, first 2 shown]
	scratch_store_b64 off, v[0:1], off offset:536 ; 8-byte Folded Spill
	v_fma_f64 v[0:1], v[122:123], s[0:1], v[0:1]
	s_clause 0x3
	scratch_store_b64 off, v[232:233], off offset:180
	scratch_store_b64 off, v[240:241], off offset:272
	;; [unrolled: 1-line block ×4, first 2 shown]
	v_mul_f64 v[4:5], v[21:22], s[36:37]
	v_fma_f64 v[53:54], v[128:129], s[14:15], -v[2:3]
	v_mul_f64 v[2:3], v[19:20], s[44:45]
	v_mul_f64 v[232:233], v[168:169], s[34:35]
	;; [unrolled: 1-line block ×3, first 2 shown]
	v_add_f64 v[0:1], v[15:16], v[0:1]
	s_clause 0x5
	scratch_store_b64 off, v[4:5], off offset:568
	scratch_store_b64 off, v[218:219], off offset:224
	;; [unrolled: 1-line block ×6, first 2 shown]
	v_fma_f64 v[49:50], v[130:131], s[24:25], v[2:3]
	v_mul_f64 v[2:3], v[17:18], s[44:45]
	v_mul_f64 v[218:219], v[10:11], s[44:45]
	;; [unrolled: 1-line block ×3, first 2 shown]
	v_add_f64 v[0:1], v[51:52], v[0:1]
	v_fma_f64 v[51:52], v[126:127], s[0:1], -v[4:5]
	scratch_store_b64 off, v[2:3], off offset:624 ; 8-byte Folded Spill
	v_add_f64 v[0:1], v[49:50], v[0:1]
	v_add_f64 v[51:52], v[13:14], v[51:52]
	v_fma_f64 v[49:50], v[132:133], s[24:25], -v[2:3]
	v_dual_mov_b32 v2, v70 :: v_dual_mov_b32 v3, v71
	s_clause 0x3
	scratch_store_b64 off, v[2:3], off offset:280
	scratch_store_b64 off, v[206:207], off offset:448
	;; [unrolled: 1-line block ×4, first 2 shown]
	v_add_f64 v[71:72], v[216:217], -v[72:73]
	v_add_f64 v[136:137], v[206:207], v[2:3]
	v_mul_f64 v[216:217], v[6:7], s[30:31]
	v_add_f64 v[51:52], v[53:54], v[51:52]
	v_add_f64 v[53:54], v[206:207], -v[2:3]
	v_mul_f64 v[206:207], v[57:58], s[42:43]
	v_mul_f64 v[2:3], v[71:72], s[40:41]
	;; [unrolled: 1-line block ×6, first 2 shown]
	v_add_f64 v[49:50], v[49:50], v[51:52]
	v_mul_f64 v[4:5], v[53:54], s[40:41]
	v_mul_f64 v[194:195], v[53:54], s[34:35]
	;; [unrolled: 1-line block ×3, first 2 shown]
	scratch_store_b64 off, v[2:3], off offset:656 ; 8-byte Folded Spill
	v_fma_f64 v[51:52], v[134:135], s[12:13], v[4:5]
	s_clause 0x4
	scratch_store_b64 off, v[4:5], off offset:648
	scratch_store_b64 off, v[108:109], off offset:408
	;; [unrolled: 1-line block ×5, first 2 shown]
	v_add_f64 v[4:5], v[92:93], -v[96:97]
	v_mul_f64 v[200:201], v[234:235], s[40:41]
	v_mul_f64 v[110:111], v[53:54], s[44:45]
	v_add_f64 v[0:1], v[51:52], v[0:1]
	v_fma_f64 v[51:52], v[136:137], s[12:13], -v[2:3]
	v_mul_f64 v[2:3], v[10:11], s[26:27]
	v_mul_f64 v[182:183], v[4:5], s[46:47]
	;; [unrolled: 1-line block ×3, first 2 shown]
	s_delay_alu instid0(VALU_DEP_4) | instskip(SKIP_3) | instid1(VALU_DEP_2)
	v_add_f64 v[49:50], v[51:52], v[49:50]
	scratch_store_b64 off, v[2:3], off offset:664 ; 8-byte Folded Spill
	v_fma_f64 v[51:52], v[138:139], s[16:17], v[2:3]
	v_mul_f64 v[2:3], v[8:9], s[26:27]
	v_add_f64 v[0:1], v[51:52], v[0:1]
	scratch_store_b64 off, v[2:3], off offset:672 ; 8-byte Folded Spill
	v_fma_f64 v[51:52], v[146:147], s[16:17], -v[2:3]
	v_mul_f64 v[2:3], v[6:7], s[28:29]
	s_clause 0x3
	scratch_store_b64 off, v[100:101], off offset:488
	scratch_store_b64 off, v[104:105], off offset:520
	;; [unrolled: 1-line block ×4, first 2 shown]
	v_mul_f64 v[102:103], v[10:11], s[34:35]
	v_mul_f64 v[100:101], v[6:7], s[54:55]
	;; [unrolled: 1-line block ×3, first 2 shown]
	v_add_f64 v[49:50], v[51:52], v[49:50]
	scratch_store_b64 off, v[2:3], off offset:680 ; 8-byte Folded Spill
	v_fma_f64 v[51:52], v[144:145], s[22:23], v[2:3]
	v_mul_f64 v[2:3], v[166:167], s[28:29]
	s_delay_alu instid0(VALU_DEP_2)
	v_add_f64 v[0:1], v[51:52], v[0:1]
	scratch_store_b64 off, v[2:3], off offset:688 ; 8-byte Folded Spill
	v_fma_f64 v[51:52], v[150:151], s[22:23], -v[2:3]
	v_mul_f64 v[2:3], v[4:5], s[30:31]
	s_clause 0x3
	scratch_store_b64 off, v[92:93], off offset:560
	scratch_store_b64 off, v[96:97], off offset:528
	;; [unrolled: 1-line block ×4, first 2 shown]
	v_mul_f64 v[96:97], v[21:22], s[28:29]
	v_mul_f64 v[92:93], v[17:18], s[36:37]
	v_add_f64 v[49:50], v[51:52], v[49:50]
	scratch_store_b64 off, v[2:3], off offset:696 ; 8-byte Folded Spill
	v_fma_f64 v[51:52], v[152:153], s[10:11], v[2:3]
	v_add_f64 v[2:3], v[94:95], -v[98:99]
	v_mul_f64 v[98:99], v[4:5], s[36:37]
	v_mul_f64 v[94:95], v[234:235], s[52:53]
	s_delay_alu instid0(VALU_DEP_4) | instskip(NEXT) | instid1(VALU_DEP_4)
	v_add_f64 v[0:1], v[51:52], v[0:1]
	v_mul_f64 v[32:33], v[2:3], s[30:31]
	v_mul_f64 v[180:181], v[2:3], s[46:47]
	;; [unrolled: 1-line block ×4, first 2 shown]
	scratch_store_b64 off, v[32:33], off offset:704 ; 8-byte Folded Spill
	v_fma_f64 v[51:52], v[154:155], s[10:11], -v[32:33]
	v_dual_mov_b32 v32, v80 :: v_dual_mov_b32 v33, v81
	s_clause 0x1
	scratch_store_b64 off, v[32:33], off offset:616
	scratch_store_b64 off, v[86:87], off offset:592
	v_add_f64 v[80:81], v[32:33], -v[86:87]
	v_add_f64 v[160:161], v[32:33], v[86:87]
	s_clause 0x1
	scratch_store_b64 off, v[76:77], off offset:608
	scratch_store_b64 off, v[82:83], off offset:584
	v_mul_f64 v[86:87], v[63:64], s[52:53]
	v_mul_f64 v[82:83], v[19:20], s[36:37]
	;; [unrolled: 1-line block ×3, first 2 shown]
	v_add_f64 v[49:50], v[51:52], v[49:50]
	v_mul_f64 v[34:35], v[80:81], s[34:35]
	v_mul_f64 v[178:179], v[80:81], s[48:49]
	;; [unrolled: 1-line block ×3, first 2 shown]
	v_fma_f64 v[118:119], v[160:161], s[14:15], v[220:221]
	v_mul_f64 v[106:107], v[80:81], s[28:29]
	v_mul_f64 v[69:70], v[80:81], s[46:47]
	v_fma_f64 v[51:52], v[156:157], s[18:19], -v[34:35]
	scratch_store_b64 off, v[34:35], off offset:712 ; 8-byte Folded Spill
	v_fma_f64 v[116:117], v[156:157], s[14:15], -v[222:223]
	v_add_f64 v[49:50], v[51:52], v[49:50]
	v_fma_f64 v[51:52], v[160:161], s[18:19], v[232:233]
	s_delay_alu instid0(VALU_DEP_1) | instskip(NEXT) | instid1(VALU_DEP_3)
	v_add_f64 v[0:1], v[51:52], v[0:1]
	v_mul_f64 v[51:52], v[49:50], v[74:75]
	s_delay_alu instid0(VALU_DEP_2) | instskip(NEXT) | instid1(VALU_DEP_2)
	v_mul_f64 v[55:56], v[0:1], v[74:75]
	v_fma_f64 v[34:35], v[0:1], v[84:85], -v[51:52]
	v_fma_f64 v[51:52], v[124:125], s[12:13], v[204:205]
	v_mul_f64 v[0:1], v[57:58], s[44:45]
	v_mul_f64 v[75:76], v[53:54], s[30:31]
	;; [unrolled: 1-line block ×3, first 2 shown]
	v_fma_f64 v[32:33], v[49:50], v[84:85], v[55:56]
	v_fma_f64 v[49:50], v[122:123], s[14:15], v[206:207]
	v_fma_f64 v[55:56], v[128:129], s[12:13], -v[200:201]
	scratch_store_b64 off, v[0:1], off offset:248 ; 8-byte Folded Spill
	v_mul_f64 v[84:85], v[8:9], s[54:55]
	scratch_store_b128 off, v[32:35], off offset:4 ; 16-byte Folded Spill
	v_add_f64 v[49:50], v[15:16], v[49:50]
	s_delay_alu instid0(VALU_DEP_1) | instskip(SKIP_1) | instid1(VALU_DEP_1)
	v_add_f64 v[49:50], v[51:52], v[49:50]
	v_fma_f64 v[51:52], v[126:127], s[14:15], -v[202:203]
	v_add_f64 v[51:52], v[13:14], v[51:52]
	s_delay_alu instid0(VALU_DEP_1) | instskip(SKIP_1) | instid1(VALU_DEP_1)
	v_add_f64 v[51:52], v[55:56], v[51:52]
	v_fma_f64 v[55:56], v[130:131], s[22:23], v[198:199]
	v_add_f64 v[49:50], v[55:56], v[49:50]
	v_fma_f64 v[55:56], v[132:133], s[22:23], -v[196:197]
	s_delay_alu instid0(VALU_DEP_1) | instskip(SKIP_1) | instid1(VALU_DEP_1)
	v_add_f64 v[51:52], v[55:56], v[51:52]
	v_fma_f64 v[55:56], v[134:135], s[18:19], v[194:195]
	v_add_f64 v[49:50], v[55:56], v[49:50]
	v_fma_f64 v[55:56], v[136:137], s[18:19], -v[192:193]
	;; [unrolled: 5-line block ×5, first 2 shown]
	s_delay_alu instid0(VALU_DEP_1) | instskip(SKIP_1) | instid1(VALU_DEP_1)
	v_add_f64 v[51:52], v[55:56], v[51:52]
	v_fma_f64 v[55:56], v[156:157], s[0:1], -v[178:179]
	v_add_f64 v[51:52], v[55:56], v[51:52]
	v_fma_f64 v[55:56], v[160:161], s[0:1], v[164:165]
	s_delay_alu instid0(VALU_DEP_1) | instskip(NEXT) | instid1(VALU_DEP_3)
	v_add_f64 v[49:50], v[55:56], v[49:50]
	v_mul_f64 v[55:56], v[51:52], v[90:91]
	s_delay_alu instid0(VALU_DEP_2) | instskip(NEXT) | instid1(VALU_DEP_2)
	v_mul_f64 v[90:91], v[49:50], v[90:91]
	v_fma_f64 v[34:35], v[49:50], v[88:89], -v[55:56]
	v_fma_f64 v[49:50], v[122:123], s[24:25], v[0:1]
	v_mul_f64 v[0:1], v[63:64], s[28:29]
	s_delay_alu instid0(VALU_DEP_4) | instskip(SKIP_1) | instid1(VALU_DEP_4)
	v_fma_f64 v[32:33], v[51:52], v[88:89], v[90:91]
	v_fma_f64 v[90:91], v[144:145], s[10:11], v[216:217]
	v_add_f64 v[49:50], v[15:16], v[49:50]
	scratch_store_b64 off, v[0:1], off offset:240 ; 8-byte Folded Spill
	v_fma_f64 v[51:52], v[124:125], s[22:23], v[0:1]
	v_mul_f64 v[0:1], v[21:22], s[44:45]
	scratch_store_b128 off, v[32:35], off offset:20 ; 16-byte Folded Spill
	v_add_f64 v[49:50], v[51:52], v[49:50]
	scratch_store_b64 off, v[0:1], off offset:304 ; 8-byte Folded Spill
	v_fma_f64 v[51:52], v[126:127], s[24:25], -v[0:1]
	v_mul_f64 v[0:1], v[234:235], s[28:29]
	s_delay_alu instid0(VALU_DEP_2) | instskip(SKIP_4) | instid1(VALU_DEP_3)
	v_add_f64 v[51:52], v[13:14], v[51:52]
	scratch_store_b64 off, v[0:1], off offset:288 ; 8-byte Folded Spill
	v_fma_f64 v[55:56], v[128:129], s[22:23], -v[0:1]
	v_mul_f64 v[0:1], v[19:20], s[60:61]
	v_mul_f64 v[19:20], v[19:20], s[30:31]
	v_add_f64 v[51:52], v[55:56], v[51:52]
	scratch_store_b64 off, v[0:1], off offset:296 ; 8-byte Folded Spill
	v_fma_f64 v[55:56], v[130:131], s[18:19], v[0:1]
	v_mul_f64 v[0:1], v[17:18], s[60:61]
	s_delay_alu instid0(VALU_DEP_2) | instskip(SKIP_3) | instid1(VALU_DEP_2)
	v_add_f64 v[49:50], v[55:56], v[49:50]
	scratch_store_b64 off, v[0:1], off offset:328 ; 8-byte Folded Spill
	v_fma_f64 v[55:56], v[132:133], s[18:19], -v[0:1]
	v_mul_f64 v[0:1], v[53:54], s[52:53]
	v_add_f64 v[51:52], v[55:56], v[51:52]
	scratch_store_b64 off, v[0:1], off offset:320 ; 8-byte Folded Spill
	v_fma_f64 v[55:56], v[134:135], s[16:17], v[0:1]
	v_mul_f64 v[0:1], v[71:72], s[52:53]
	s_delay_alu instid0(VALU_DEP_2) | instskip(SKIP_3) | instid1(VALU_DEP_2)
	v_add_f64 v[49:50], v[55:56], v[49:50]
	scratch_store_b64 off, v[0:1], off offset:352 ; 8-byte Folded Spill
	v_fma_f64 v[55:56], v[136:137], s[16:17], -v[0:1]
	;; [unrolled: 9-line block ×5, first 2 shown]
	v_mul_f64 v[0:1], v[80:81], s[30:31]
	v_add_f64 v[51:52], v[55:56], v[51:52]
	scratch_store_b64 off, v[0:1], off offset:416 ; 8-byte Folded Spill
	v_fma_f64 v[55:56], v[156:157], s[10:11], -v[0:1]
	v_mul_f64 v[0:1], v[168:169], s[30:31]
	s_delay_alu instid0(VALU_DEP_2) | instskip(NEXT) | instid1(VALU_DEP_2)
	v_add_f64 v[51:52], v[55:56], v[51:52]
	v_fma_f64 v[55:56], v[160:161], s[10:11], v[0:1]
	s_delay_alu instid0(VALU_DEP_1) | instskip(NEXT) | instid1(VALU_DEP_3)
	v_add_f64 v[49:50], v[55:56], v[49:50]
	v_mul_f64 v[55:56], v[51:52], v[238:239]
	s_delay_alu instid0(VALU_DEP_2) | instskip(NEXT) | instid1(VALU_DEP_2)
	v_mul_f64 v[88:89], v[49:50], v[238:239]
	v_fma_f64 v[34:35], v[49:50], v[236:237], -v[55:56]
	v_fma_f64 v[49:50], v[122:123], s[12:13], v[240:241]
	v_mul_f64 v[238:239], v[17:18], s[52:53]
	v_mul_f64 v[17:18], v[17:18], s[30:31]
	v_fma_f64 v[32:33], v[51:52], v[236:237], v[88:89]
	v_fma_f64 v[51:52], v[124:125], s[18:19], v[242:243]
	v_add_f64 v[49:50], v[15:16], v[49:50]
	v_mul_f64 v[236:237], v[234:235], s[34:35]
	v_fma_f64 v[88:89], v[138:139], s[24:25], v[218:219]
	scratch_store_b64 off, v[0:1], off offset:440 ; 8-byte Folded Spill
	v_mul_f64 v[0:1], v[4:5], s[50:51]
	scratch_store_b128 off, v[32:35], off offset:36 ; 16-byte Folded Spill
	v_add_f64 v[49:50], v[51:52], v[49:50]
	v_fma_f64 v[51:52], v[126:127], s[12:13], -v[230:231]
	v_fma_f64 v[55:56], v[128:129], s[18:19], -v[236:237]
	s_delay_alu instid0(VALU_DEP_2) | instskip(NEXT) | instid1(VALU_DEP_1)
	v_add_f64 v[51:52], v[13:14], v[51:52]
	v_add_f64 v[51:52], v[55:56], v[51:52]
	v_fma_f64 v[55:56], v[130:131], s[16:17], v[248:249]
	s_delay_alu instid0(VALU_DEP_1) | instskip(SKIP_1) | instid1(VALU_DEP_1)
	v_add_f64 v[49:50], v[55:56], v[49:50]
	v_fma_f64 v[55:56], v[132:133], s[16:17], -v[238:239]
	v_add_f64 v[51:52], v[55:56], v[51:52]
	v_fma_f64 v[55:56], v[134:135], s[0:1], v[254:255]
	s_delay_alu instid0(VALU_DEP_1) | instskip(SKIP_1) | instid1(VALU_DEP_2)
	v_add_f64 v[49:50], v[55:56], v[49:50]
	v_fma_f64 v[55:56], v[136:137], s[0:1], -v[244:245]
	v_add_f64 v[88:89], v[88:89], v[49:50]
	s_delay_alu instid0(VALU_DEP_2)
	v_add_f64 v[55:56], v[55:56], v[51:52]
	v_fma_f64 v[49:50], v[146:147], s[24:25], -v[246:247]
	v_mul_f64 v[51:52], v[4:5], s[34:35]
	v_mul_f64 v[4:5], v[4:5], s[26:27]
	v_add_f64 v[88:89], v[90:91], v[88:89]
	v_fma_f64 v[90:91], v[150:151], s[10:11], -v[250:251]
	v_add_f64 v[55:56], v[49:50], v[55:56]
	v_mul_f64 v[49:50], v[234:235], s[46:47]
	s_delay_alu instid0(VALU_DEP_2) | instskip(SKIP_1) | instid1(VALU_DEP_1)
	v_add_f64 v[55:56], v[90:91], v[55:56]
	v_fma_f64 v[90:91], v[152:153], s[22:23], v[252:253]
	v_add_f64 v[114:115], v[90:91], v[88:89]
	v_fma_f64 v[88:89], v[154:155], s[22:23], -v[224:225]
	v_mul_f64 v[90:91], v[57:58], s[28:29]
	s_delay_alu instid0(VALU_DEP_3) | instskip(NEXT) | instid1(VALU_DEP_3)
	v_add_f64 v[114:115], v[118:119], v[114:115]
	v_add_f64 v[55:56], v[88:89], v[55:56]
	v_mul_f64 v[88:89], v[71:72], s[30:31]
	v_mul_f64 v[71:72], v[71:72], s[50:51]
	s_delay_alu instid0(VALU_DEP_3) | instskip(SKIP_1) | instid1(VALU_DEP_2)
	v_add_f64 v[116:117], v[116:117], v[55:56]
	v_mul_f64 v[55:56], v[6:7], s[42:43]
	v_mul_f64 v[118:119], v[116:117], v[26:27]
	;; [unrolled: 1-line block ×3, first 2 shown]
	s_delay_alu instid0(VALU_DEP_2) | instskip(NEXT) | instid1(VALU_DEP_2)
	v_fma_f64 v[34:35], v[114:115], v[24:25], -v[118:119]
	v_fma_f64 v[32:33], v[116:117], v[24:25], v[26:27]
	v_fma_f64 v[25:26], v[122:123], s[16:17], v[170:171]
	;; [unrolled: 1-line block ×3, first 2 shown]
	v_fma_f64 v[116:117], v[128:129], s[10:11], -v[174:175]
	v_mul_f64 v[118:119], v[166:167], s[54:55]
	s_delay_alu instid0(VALU_DEP_4) | instskip(NEXT) | instid1(VALU_DEP_1)
	v_add_f64 v[25:26], v[15:16], v[25:26]
	v_add_f64 v[25:26], v[114:115], v[25:26]
	v_fma_f64 v[114:115], v[126:127], s[16:17], -v[176:177]
	s_delay_alu instid0(VALU_DEP_1) | instskip(NEXT) | instid1(VALU_DEP_1)
	v_add_f64 v[114:115], v[13:14], v[114:115]
	v_add_f64 v[114:115], v[116:117], v[114:115]
	v_fma_f64 v[116:117], v[130:131], s[14:15], v[120:121]
	s_delay_alu instid0(VALU_DEP_1) | instskip(SKIP_1) | instid1(VALU_DEP_1)
	v_add_f64 v[25:26], v[116:117], v[25:26]
	v_fma_f64 v[116:117], v[132:133], s[14:15], -v[172:173]
	v_add_f64 v[114:115], v[116:117], v[114:115]
	v_fma_f64 v[116:117], v[134:135], s[24:25], v[110:111]
	s_delay_alu instid0(VALU_DEP_1) | instskip(SKIP_1) | instid1(VALU_DEP_1)
	v_add_f64 v[25:26], v[116:117], v[25:26]
	v_fma_f64 v[116:117], v[136:137], s[24:25], -v[158:159]
	;; [unrolled: 5-line block ×5, first 2 shown]
	v_add_f64 v[114:115], v[116:117], v[114:115]
	v_fma_f64 v[116:117], v[156:157], s[22:23], -v[106:107]
	s_delay_alu instid0(VALU_DEP_1) | instskip(SKIP_1) | instid1(VALU_DEP_1)
	v_add_f64 v[114:115], v[116:117], v[114:115]
	v_fma_f64 v[116:117], v[160:161], s[22:23], v[104:105]
	v_add_f64 v[25:26], v[116:117], v[25:26]
	s_delay_alu instid0(VALU_DEP_3) | instskip(NEXT) | instid1(VALU_DEP_2)
	v_mul_f64 v[116:117], v[114:115], v[30:31]
	v_mul_f64 v[30:31], v[25:26], v[30:31]
	s_delay_alu instid0(VALU_DEP_2) | instskip(NEXT) | instid1(VALU_DEP_2)
	v_fma_f64 v[25:26], v[25:26], v[28:29], -v[116:117]
	v_fma_f64 v[23:24], v[114:115], v[28:29], v[30:31]
	scratch_store_b128 off, v[32:35], off offset:52 ; 16-byte Folded Spill
	v_fma_f64 v[29:30], v[126:127], s[22:23], -v[96:97]
	v_fma_f64 v[27:28], v[124:125], s[16:17], v[86:87]
	v_fma_f64 v[113:114], v[128:129], s[16:17], -v[94:95]
	v_mul_f64 v[35:36], v[53:54], s[58:59]
	v_mul_f64 v[33:34], v[2:3], s[50:51]
	;; [unrolled: 1-line block ×6, first 2 shown]
	scratch_store_b128 off, v[23:26], off offset:68 ; 16-byte Folded Spill
	v_fma_f64 v[25:26], v[122:123], s[22:23], v[90:91]
	v_add_f64 v[29:30], v[13:14], v[29:30]
	s_delay_alu instid0(VALU_DEP_2) | instskip(NEXT) | instid1(VALU_DEP_2)
	v_add_f64 v[25:26], v[15:16], v[25:26]
	v_add_f64 v[29:30], v[113:114], v[29:30]
	v_fma_f64 v[113:114], v[130:131], s[0:1], v[82:83]
	s_delay_alu instid0(VALU_DEP_3) | instskip(SKIP_1) | instid1(VALU_DEP_2)
	v_add_f64 v[25:26], v[27:28], v[25:26]
	v_mul_f64 v[27:28], v[168:169], s[26:27]
	v_add_f64 v[25:26], v[113:114], v[25:26]
	v_fma_f64 v[112:113], v[132:133], s[0:1], -v[92:93]
	v_fma_f64 v[114:115], v[128:129], s[24:25], -v[49:50]
	s_delay_alu instid0(VALU_DEP_2) | instskip(SKIP_1) | instid1(VALU_DEP_1)
	v_add_f64 v[29:30], v[112:113], v[29:30]
	v_fma_f64 v[112:113], v[134:135], s[10:11], v[75:76]
	v_add_f64 v[25:26], v[112:113], v[25:26]
	v_fma_f64 v[112:113], v[136:137], s[10:11], -v[88:89]
	s_delay_alu instid0(VALU_DEP_1) | instskip(SKIP_1) | instid1(VALU_DEP_1)
	v_add_f64 v[29:30], v[112:113], v[29:30]
	v_fma_f64 v[112:113], v[138:139], s[12:13], v[59:60]
	v_add_f64 v[25:26], v[112:113], v[25:26]
	v_fma_f64 v[112:113], v[146:147], s[12:13], -v[84:85]
	s_delay_alu instid0(VALU_DEP_1) | instskip(SKIP_1) | instid1(VALU_DEP_1)
	;; [unrolled: 5-line block ×4, first 2 shown]
	v_add_f64 v[29:30], v[112:113], v[29:30]
	v_fma_f64 v[112:113], v[156:157], s[24:25], -v[69:70]
	v_add_f64 v[29:30], v[112:113], v[29:30]
	v_fma_f64 v[112:113], v[160:161], s[24:25], v[61:62]
	s_delay_alu instid0(VALU_DEP_1) | instskip(NEXT) | instid1(VALU_DEP_3)
	v_add_f64 v[25:26], v[112:113], v[25:26]
	v_mul_f64 v[112:113], v[29:30], v[65:66]
	s_delay_alu instid0(VALU_DEP_2) | instskip(NEXT) | instid1(VALU_DEP_2)
	v_mul_f64 v[65:66], v[25:26], v[65:66]
	v_fma_f64 v[25:26], v[25:26], v[67:68], -v[112:113]
	s_delay_alu instid0(VALU_DEP_2)
	v_fma_f64 v[23:24], v[29:30], v[67:68], v[65:66]
	v_fma_f64 v[29:30], v[122:123], s[10:11], v[45:46]
	v_mul_f64 v[65:66], v[63:64], s[46:47]
	scratch_store_b128 off, v[23:26], off offset:84 ; 16-byte Folded Spill
	v_add_f64 v[29:30], v[15:16], v[29:30]
	v_fma_f64 v[67:68], v[124:125], s[24:25], v[65:66]
	v_mul_f64 v[25:26], v[10:11], s[36:37]
	v_mul_f64 v[23:24], v[6:7], s[34:35]
	;; [unrolled: 1-line block ×3, first 2 shown]
	s_delay_alu instid0(VALU_DEP_4) | instskip(SKIP_2) | instid1(VALU_DEP_2)
	v_add_f64 v[29:30], v[67:68], v[29:30]
	v_mul_f64 v[67:68], v[21:22], s[30:31]
	v_mul_f64 v[21:22], v[21:22], s[34:35]
	v_fma_f64 v[112:113], v[126:127], s[10:11], -v[67:68]
	s_delay_alu instid0(VALU_DEP_1) | instskip(NEXT) | instid1(VALU_DEP_1)
	v_add_f64 v[112:113], v[13:14], v[112:113]
	v_add_f64 v[112:113], v[114:115], v[112:113]
	v_fma_f64 v[114:115], v[130:131], s[12:13], v[39:40]
	s_delay_alu instid0(VALU_DEP_1) | instskip(SKIP_1) | instid1(VALU_DEP_1)
	v_add_f64 v[29:30], v[114:115], v[29:30]
	v_fma_f64 v[114:115], v[132:133], s[12:13], -v[47:48]
	v_add_f64 v[112:113], v[114:115], v[112:113]
	v_fma_f64 v[114:115], v[134:135], s[22:23], v[35:36]
	s_delay_alu instid0(VALU_DEP_1) | instskip(SKIP_1) | instid1(VALU_DEP_1)
	v_add_f64 v[29:30], v[114:115], v[29:30]
	v_fma_f64 v[114:115], v[136:137], s[22:23], -v[43:44]
	;; [unrolled: 5-line block ×4, first 2 shown]
	v_add_f64 v[112:113], v[114:115], v[112:113]
	v_fma_f64 v[114:115], v[152:153], s[14:15], v[0:1]
	v_fma_f64 v[0:1], v[152:153], s[14:15], -v[0:1]
	s_delay_alu instid0(VALU_DEP_2) | instskip(SKIP_1) | instid1(VALU_DEP_1)
	v_add_f64 v[29:30], v[114:115], v[29:30]
	v_fma_f64 v[114:115], v[154:155], s[14:15], -v[33:34]
	v_add_f64 v[112:113], v[114:115], v[112:113]
	v_fma_f64 v[114:115], v[156:157], s[16:17], -v[31:32]
	s_delay_alu instid0(VALU_DEP_1) | instskip(SKIP_1) | instid1(VALU_DEP_1)
	v_add_f64 v[112:113], v[114:115], v[112:113]
	v_fma_f64 v[114:115], v[160:161], s[16:17], v[27:28]
	v_add_f64 v[29:30], v[114:115], v[29:30]
	s_delay_alu instid0(VALU_DEP_3) | instskip(NEXT) | instid1(VALU_DEP_2)
	v_mul_f64 v[114:115], v[112:113], v[162:163]
	v_mul_f64 v[162:163], v[29:30], v[162:163]
	s_delay_alu instid0(VALU_DEP_2) | instskip(SKIP_2) | instid1(VALU_DEP_4)
	v_fma_f64 v[115:116], v[29:30], v[142:143], -v[114:115]
	v_mul_f64 v[29:30], v[57:58], s[34:35]
	v_mul_f64 v[57:58], v[63:64], s[48:49]
	v_fma_f64 v[113:114], v[112:113], v[142:143], v[162:163]
	v_fma_f64 v[162:163], v[126:127], s[18:19], -v[21:22]
	s_delay_alu instid0(VALU_DEP_4) | instskip(NEXT) | instid1(VALU_DEP_4)
	v_fma_f64 v[63:64], v[122:123], s[18:19], v[29:30]
	v_fma_f64 v[142:143], v[124:125], s[0:1], v[57:58]
	v_fma_f64 v[29:30], v[122:123], s[18:19], -v[29:30]
	v_fma_f64 v[57:58], v[124:125], s[0:1], -v[57:58]
	v_add_f64 v[162:163], v[13:14], v[162:163]
	v_add_f64 v[63:64], v[15:16], v[63:64]
	s_delay_alu instid0(VALU_DEP_4) | instskip(NEXT) | instid1(VALU_DEP_2)
	v_add_f64 v[29:30], v[15:16], v[29:30]
	v_add_f64 v[63:64], v[142:143], v[63:64]
	v_mul_f64 v[142:143], v[234:235], s[48:49]
	s_delay_alu instid0(VALU_DEP_3) | instskip(NEXT) | instid1(VALU_DEP_2)
	v_add_f64 v[29:30], v[57:58], v[29:30]
	v_fma_f64 v[234:235], v[128:129], s[0:1], -v[142:143]
	s_delay_alu instid0(VALU_DEP_1) | instskip(SKIP_2) | instid1(VALU_DEP_2)
	v_add_f64 v[162:163], v[234:235], v[162:163]
	v_fma_f64 v[234:235], v[130:131], s[10:11], v[19:20]
	v_fma_f64 v[19:20], v[130:131], s[10:11], -v[19:20]
	v_add_f64 v[63:64], v[234:235], v[63:64]
	v_fma_f64 v[234:235], v[132:133], s[10:11], -v[17:18]
	s_delay_alu instid0(VALU_DEP_3) | instskip(SKIP_2) | instid1(VALU_DEP_4)
	v_add_f64 v[19:20], v[19:20], v[29:30]
	v_fma_f64 v[29:30], v[134:135], s[14:15], -v[53:54]
	v_fma_f64 v[17:18], v[132:133], s[10:11], v[17:18]
	v_add_f64 v[162:163], v[234:235], v[162:163]
	v_fma_f64 v[234:235], v[134:135], s[14:15], v[53:54]
	s_delay_alu instid0(VALU_DEP_4) | instskip(NEXT) | instid1(VALU_DEP_2)
	v_add_f64 v[19:20], v[29:30], v[19:20]
	v_add_f64 v[63:64], v[234:235], v[63:64]
	v_fma_f64 v[234:235], v[136:137], s[14:15], -v[71:72]
	s_delay_alu instid0(VALU_DEP_1) | instskip(SKIP_1) | instid1(VALU_DEP_1)
	v_add_f64 v[162:163], v[234:235], v[162:163]
	v_mul_f64 v[234:235], v[10:11], s[28:29]
	v_fma_f64 v[10:11], v[138:139], s[22:23], v[234:235]
	v_fma_f64 v[29:30], v[138:139], s[22:23], -v[234:235]
	s_delay_alu instid0(VALU_DEP_2) | instskip(SKIP_1) | instid1(VALU_DEP_3)
	v_add_f64 v[10:11], v[10:11], v[63:64]
	v_mul_f64 v[63:64], v[8:9], s[28:29]
	v_add_f64 v[19:20], v[29:30], v[19:20]
	s_delay_alu instid0(VALU_DEP_2) | instskip(NEXT) | instid1(VALU_DEP_1)
	v_fma_f64 v[8:9], v[146:147], s[22:23], -v[63:64]
	v_add_f64 v[8:9], v[8:9], v[162:163]
	v_fma_f64 v[162:163], v[144:145], s[24:25], v[6:7]
	v_fma_f64 v[6:7], v[144:145], s[24:25], -v[6:7]
	s_delay_alu instid0(VALU_DEP_2) | instskip(SKIP_1) | instid1(VALU_DEP_3)
	v_add_f64 v[10:11], v[162:163], v[10:11]
	v_mul_f64 v[162:163], v[166:167], s[46:47]
	v_add_f64 v[6:7], v[6:7], v[19:20]
	v_fma_f64 v[19:20], v[128:129], s[0:1], v[142:143]
	s_delay_alu instid0(VALU_DEP_3) | instskip(NEXT) | instid1(VALU_DEP_1)
	v_fma_f64 v[166:167], v[150:151], s[24:25], -v[162:163]
	v_add_f64 v[8:9], v[166:167], v[8:9]
	v_fma_f64 v[166:167], v[152:153], s[16:17], v[4:5]
	v_fma_f64 v[4:5], v[152:153], s[16:17], -v[4:5]
	s_delay_alu instid0(VALU_DEP_2) | instskip(NEXT) | instid1(VALU_DEP_2)
	v_add_f64 v[10:11], v[166:167], v[10:11]
	v_add_f64 v[4:5], v[4:5], v[6:7]
	v_fma_f64 v[6:7], v[126:127], s[18:19], v[21:22]
	v_fma_f64 v[166:167], v[154:155], s[16:17], -v[2:3]
	v_fma_f64 v[2:3], v[154:155], s[16:17], v[2:3]
	scratch_load_b64 v[21:22], off, off offset:632 ; 8-byte Folded Reload
	v_add_f64 v[6:7], v[13:14], v[6:7]
	v_add_f64 v[8:9], v[166:167], v[8:9]
	v_fma_f64 v[166:167], v[156:157], s[12:13], -v[80:81]
	s_delay_alu instid0(VALU_DEP_3) | instskip(NEXT) | instid1(VALU_DEP_2)
	v_add_f64 v[6:7], v[19:20], v[6:7]
	v_add_f64 v[8:9], v[166:167], v[8:9]
	v_mul_f64 v[166:167], v[168:169], s[54:55]
	s_delay_alu instid0(VALU_DEP_3) | instskip(SKIP_1) | instid1(VALU_DEP_3)
	v_add_f64 v[6:7], v[17:18], v[6:7]
	v_fma_f64 v[17:18], v[136:137], s[14:15], v[71:72]
	v_fma_f64 v[168:169], v[160:161], s[12:13], v[166:167]
	s_delay_alu instid0(VALU_DEP_2) | instskip(SKIP_1) | instid1(VALU_DEP_3)
	v_add_f64 v[6:7], v[17:18], v[6:7]
	v_fma_f64 v[17:18], v[146:147], s[22:23], v[63:64]
	v_add_f64 v[10:11], v[168:169], v[10:11]
	v_mul_f64 v[168:169], v[8:9], v[210:211]
	s_delay_alu instid0(VALU_DEP_3) | instskip(SKIP_1) | instid1(VALU_DEP_4)
	v_add_f64 v[6:7], v[17:18], v[6:7]
	v_fma_f64 v[17:18], v[150:151], s[24:25], v[162:163]
	v_mul_f64 v[210:211], v[10:11], v[210:211]
	s_delay_alu instid0(VALU_DEP_4) | instskip(NEXT) | instid1(VALU_DEP_3)
	v_fma_f64 v[10:11], v[10:11], v[208:209], -v[168:169]
	v_add_f64 v[6:7], v[17:18], v[6:7]
	s_delay_alu instid0(VALU_DEP_3) | instskip(NEXT) | instid1(VALU_DEP_2)
	v_fma_f64 v[8:9], v[8:9], v[208:209], v[210:211]
	v_add_f64 v[2:3], v[2:3], v[6:7]
	v_fma_f64 v[6:7], v[156:157], s[12:13], v[80:81]
	s_delay_alu instid0(VALU_DEP_1) | instskip(SKIP_1) | instid1(VALU_DEP_1)
	v_add_f64 v[2:3], v[6:7], v[2:3]
	v_fma_f64 v[6:7], v[160:161], s[12:13], -v[166:167]
	v_add_f64 v[4:5], v[6:7], v[4:5]
	s_delay_alu instid0(VALU_DEP_3) | instskip(NEXT) | instid1(VALU_DEP_2)
	v_mul_f64 v[6:7], v[2:3], v[212:213]
	v_mul_f64 v[17:18], v[4:5], v[212:213]
	s_delay_alu instid0(VALU_DEP_2) | instskip(SKIP_1) | instid1(VALU_DEP_3)
	v_fma_f64 v[19:20], v[4:5], v[214:215], -v[6:7]
	v_fma_f64 v[4:5], v[124:125], s[24:25], -v[65:66]
	v_fma_f64 v[17:18], v[2:3], v[214:215], v[17:18]
	v_fma_f64 v[2:3], v[122:123], s[10:11], -v[45:46]
	s_delay_alu instid0(VALU_DEP_1) | instskip(NEXT) | instid1(VALU_DEP_1)
	v_add_f64 v[2:3], v[15:16], v[2:3]
	v_add_f64 v[2:3], v[4:5], v[2:3]
	v_fma_f64 v[4:5], v[130:131], s[12:13], -v[39:40]
	s_delay_alu instid0(VALU_DEP_1) | instskip(SKIP_1) | instid1(VALU_DEP_1)
	v_add_f64 v[2:3], v[4:5], v[2:3]
	v_fma_f64 v[4:5], v[134:135], s[22:23], -v[35:36]
	v_add_f64 v[2:3], v[4:5], v[2:3]
	v_fma_f64 v[4:5], v[138:139], s[0:1], -v[25:26]
	scratch_load_b64 v[25:26], off, off offset:456 ; 8-byte Folded Reload
	v_add_f64 v[2:3], v[4:5], v[2:3]
	v_fma_f64 v[4:5], v[144:145], s[18:19], -v[23:24]
	s_delay_alu instid0(VALU_DEP_1) | instskip(SKIP_1) | instid1(VALU_DEP_2)
	v_add_f64 v[2:3], v[4:5], v[2:3]
	v_fma_f64 v[4:5], v[128:129], s[24:25], v[49:50]
	v_add_f64 v[0:1], v[0:1], v[2:3]
	v_fma_f64 v[2:3], v[126:127], s[10:11], v[67:68]
	s_delay_alu instid0(VALU_DEP_1) | instskip(NEXT) | instid1(VALU_DEP_1)
	v_add_f64 v[2:3], v[13:14], v[2:3]
	v_add_f64 v[2:3], v[4:5], v[2:3]
	v_fma_f64 v[4:5], v[132:133], s[12:13], v[47:48]
	s_delay_alu instid0(VALU_DEP_1) | instskip(SKIP_1) | instid1(VALU_DEP_1)
	v_add_f64 v[2:3], v[4:5], v[2:3]
	v_fma_f64 v[4:5], v[136:137], s[22:23], v[43:44]
	v_add_f64 v[2:3], v[4:5], v[2:3]
	v_fma_f64 v[4:5], v[146:147], s[0:1], v[41:42]
	s_delay_alu instid0(VALU_DEP_1) | instskip(SKIP_1) | instid1(VALU_DEP_1)
	v_add_f64 v[2:3], v[4:5], v[2:3]
	v_fma_f64 v[4:5], v[150:151], s[18:19], v[37:38]
	;; [unrolled: 5-line block ×3, first 2 shown]
	v_add_f64 v[2:3], v[4:5], v[2:3]
	v_fma_f64 v[4:5], v[160:161], s[16:17], -v[27:28]
	scratch_load_b64 v[27:28], off, off offset:424 ; 8-byte Folded Reload
	v_add_f64 v[0:1], v[4:5], v[0:1]
	v_mul_f64 v[4:5], v[2:3], v[228:229]
	s_delay_alu instid0(VALU_DEP_2) | instskip(NEXT) | instid1(VALU_DEP_2)
	v_mul_f64 v[6:7], v[0:1], v[228:229]
	v_fma_f64 v[168:169], v[0:1], v[226:227], -v[4:5]
	v_fma_f64 v[0:1], v[122:123], s[22:23], -v[90:91]
	v_fma_f64 v[4:5], v[128:129], s[16:17], v[94:95]
	s_delay_alu instid0(VALU_DEP_4) | instskip(SKIP_1) | instid1(VALU_DEP_4)
	v_fma_f64 v[166:167], v[2:3], v[226:227], v[6:7]
	v_fma_f64 v[2:3], v[124:125], s[16:17], -v[86:87]
	v_add_f64 v[0:1], v[15:16], v[0:1]
	scratch_load_b64 v[6:7], off, off offset:640 ; 8-byte Folded Reload
	v_add_f64 v[0:1], v[2:3], v[0:1]
	v_fma_f64 v[2:3], v[130:131], s[0:1], -v[82:83]
	s_delay_alu instid0(VALU_DEP_1) | instskip(SKIP_1) | instid1(VALU_DEP_1)
	v_add_f64 v[0:1], v[2:3], v[0:1]
	v_fma_f64 v[2:3], v[134:135], s[10:11], -v[75:76]
	v_add_f64 v[0:1], v[2:3], v[0:1]
	v_fma_f64 v[2:3], v[138:139], s[12:13], -v[59:60]
	s_delay_alu instid0(VALU_DEP_1) | instskip(SKIP_1) | instid1(VALU_DEP_1)
	v_add_f64 v[0:1], v[2:3], v[0:1]
	v_fma_f64 v[2:3], v[144:145], s[14:15], -v[55:56]
	v_add_f64 v[0:1], v[2:3], v[0:1]
	v_fma_f64 v[2:3], v[152:153], s[18:19], -v[51:52]
	s_waitcnt vmcnt(1)
	v_fma_f64 v[27:28], v[154:155], s[12:13], v[27:28]
	s_delay_alu instid0(VALU_DEP_2) | instskip(SKIP_1) | instid1(VALU_DEP_1)
	v_add_f64 v[0:1], v[2:3], v[0:1]
	v_fma_f64 v[2:3], v[126:127], s[22:23], v[96:97]
	v_add_f64 v[2:3], v[13:14], v[2:3]
	s_delay_alu instid0(VALU_DEP_1) | instskip(SKIP_1) | instid1(VALU_DEP_1)
	v_add_f64 v[2:3], v[4:5], v[2:3]
	v_fma_f64 v[4:5], v[132:133], s[0:1], v[92:93]
	v_add_f64 v[2:3], v[4:5], v[2:3]
	v_fma_f64 v[4:5], v[136:137], s[10:11], v[88:89]
	s_delay_alu instid0(VALU_DEP_1) | instskip(SKIP_1) | instid1(VALU_DEP_1)
	v_add_f64 v[2:3], v[4:5], v[2:3]
	v_fma_f64 v[4:5], v[146:147], s[12:13], v[84:85]
	v_add_f64 v[2:3], v[4:5], v[2:3]
	v_fma_f64 v[4:5], v[150:151], s[14:15], v[77:78]
	;; [unrolled: 5-line block ×3, first 2 shown]
	s_delay_alu instid0(VALU_DEP_1) | instskip(SKIP_1) | instid1(VALU_DEP_1)
	v_add_f64 v[2:3], v[4:5], v[2:3]
	v_fma_f64 v[4:5], v[160:161], s[24:25], -v[61:62]
	v_add_f64 v[0:1], v[4:5], v[0:1]
	s_waitcnt vmcnt(0)
	s_delay_alu instid0(VALU_DEP_3) | instskip(NEXT) | instid1(VALU_DEP_2)
	v_mul_f64 v[4:5], v[2:3], v[6:7]
	v_mul_f64 v[6:7], v[0:1], v[6:7]
	s_delay_alu instid0(VALU_DEP_2) | instskip(SKIP_2) | instid1(VALU_DEP_4)
	v_fma_f64 v[23:24], v[0:1], v[21:22], -v[4:5]
	v_fma_f64 v[0:1], v[122:123], s[14:15], -v[206:207]
	v_fma_f64 v[4:5], v[128:129], s[12:13], v[200:201]
	v_fma_f64 v[21:22], v[2:3], v[21:22], v[6:7]
	v_fma_f64 v[2:3], v[124:125], s[12:13], -v[204:205]
	s_delay_alu instid0(VALU_DEP_4) | instskip(SKIP_3) | instid1(VALU_DEP_1)
	v_add_f64 v[0:1], v[15:16], v[0:1]
	scratch_load_b64 v[6:7], off, off offset:464 ; 8-byte Folded Reload
	v_add_f64 v[0:1], v[2:3], v[0:1]
	v_fma_f64 v[2:3], v[126:127], s[14:15], v[202:203]
	v_add_f64 v[2:3], v[13:14], v[2:3]
	s_delay_alu instid0(VALU_DEP_1) | instskip(SKIP_1) | instid1(VALU_DEP_1)
	v_add_f64 v[2:3], v[4:5], v[2:3]
	v_fma_f64 v[4:5], v[130:131], s[22:23], -v[198:199]
	v_add_f64 v[0:1], v[4:5], v[0:1]
	v_fma_f64 v[4:5], v[132:133], s[22:23], v[196:197]
	s_delay_alu instid0(VALU_DEP_1) | instskip(SKIP_1) | instid1(VALU_DEP_1)
	v_add_f64 v[2:3], v[4:5], v[2:3]
	v_fma_f64 v[4:5], v[134:135], s[18:19], -v[194:195]
	v_add_f64 v[0:1], v[4:5], v[0:1]
	v_fma_f64 v[4:5], v[136:137], s[18:19], v[192:193]
	;; [unrolled: 5-line block ×5, first 2 shown]
	s_delay_alu instid0(VALU_DEP_1) | instskip(SKIP_1) | instid1(VALU_DEP_1)
	v_add_f64 v[2:3], v[4:5], v[2:3]
	v_fma_f64 v[4:5], v[156:157], s[0:1], v[178:179]
	v_add_f64 v[2:3], v[4:5], v[2:3]
	v_fma_f64 v[4:5], v[160:161], s[0:1], -v[164:165]
	s_delay_alu instid0(VALU_DEP_1) | instskip(SKIP_1) | instid1(VALU_DEP_3)
	v_add_f64 v[0:1], v[4:5], v[0:1]
	s_waitcnt vmcnt(0)
	v_mul_f64 v[4:5], v[2:3], v[6:7]
	s_delay_alu instid0(VALU_DEP_2) | instskip(NEXT) | instid1(VALU_DEP_2)
	v_mul_f64 v[6:7], v[0:1], v[6:7]
	v_fma_f64 v[200:201], v[0:1], v[25:26], -v[4:5]
	s_clause 0x1
	scratch_load_b64 v[0:1], off, off offset:536
	scratch_load_b64 v[4:5], off, off offset:576
	v_fma_f64 v[198:199], v[2:3], v[25:26], v[6:7]
	s_clause 0x2
	scratch_load_b64 v[2:3], off, off offset:544
	scratch_load_b64 v[6:7], off, off offset:212
	;; [unrolled: 1-line block ×3, first 2 shown]
	s_waitcnt vmcnt(4)
	v_fma_f64 v[0:1], v[122:123], s[0:1], -v[0:1]
	s_waitcnt vmcnt(3)
	v_fma_f64 v[4:5], v[128:129], s[14:15], v[4:5]
	s_waitcnt vmcnt(2)
	v_fma_f64 v[2:3], v[124:125], s[14:15], -v[2:3]
	s_delay_alu instid0(VALU_DEP_3) | instskip(NEXT) | instid1(VALU_DEP_1)
	v_add_f64 v[0:1], v[15:16], v[0:1]
	v_add_f64 v[0:1], v[2:3], v[0:1]
	scratch_load_b64 v[2:3], off, off offset:568 ; 8-byte Folded Reload
	s_waitcnt vmcnt(0)
	v_fma_f64 v[2:3], v[126:127], s[0:1], v[2:3]
	s_delay_alu instid0(VALU_DEP_1) | instskip(NEXT) | instid1(VALU_DEP_1)
	v_add_f64 v[2:3], v[13:14], v[2:3]
	v_add_f64 v[2:3], v[4:5], v[2:3]
	scratch_load_b64 v[4:5], off, off offset:600 ; 8-byte Folded Reload
	s_waitcnt vmcnt(0)
	v_fma_f64 v[4:5], v[130:131], s[24:25], -v[4:5]
	s_delay_alu instid0(VALU_DEP_1) | instskip(SKIP_3) | instid1(VALU_DEP_1)
	v_add_f64 v[0:1], v[4:5], v[0:1]
	scratch_load_b64 v[4:5], off, off offset:624 ; 8-byte Folded Reload
	s_waitcnt vmcnt(0)
	v_fma_f64 v[4:5], v[132:133], s[24:25], v[4:5]
	v_add_f64 v[2:3], v[4:5], v[2:3]
	scratch_load_b64 v[4:5], off, off offset:648 ; 8-byte Folded Reload
	s_waitcnt vmcnt(0)
	v_fma_f64 v[4:5], v[134:135], s[12:13], -v[4:5]
	s_delay_alu instid0(VALU_DEP_1) | instskip(SKIP_3) | instid1(VALU_DEP_1)
	v_add_f64 v[0:1], v[4:5], v[0:1]
	scratch_load_b64 v[4:5], off, off offset:656 ; 8-byte Folded Reload
	s_waitcnt vmcnt(0)
	v_fma_f64 v[4:5], v[136:137], s[12:13], v[4:5]
	;; [unrolled: 9-line block ×5, first 2 shown]
	v_add_f64 v[2:3], v[4:5], v[2:3]
	scratch_load_b64 v[4:5], off, off offset:712 ; 8-byte Folded Reload
	s_waitcnt vmcnt(0)
	v_fma_f64 v[4:5], v[156:157], s[18:19], v[4:5]
	s_delay_alu instid0(VALU_DEP_1) | instskip(SKIP_1) | instid1(VALU_DEP_1)
	v_add_f64 v[2:3], v[4:5], v[2:3]
	v_fma_f64 v[4:5], v[160:161], s[18:19], -v[232:233]
	v_add_f64 v[0:1], v[4:5], v[0:1]
	s_delay_alu instid0(VALU_DEP_3) | instskip(NEXT) | instid1(VALU_DEP_2)
	v_mul_f64 v[4:5], v[6:7], v[2:3]
	v_mul_f64 v[6:7], v[6:7], v[0:1]
	s_delay_alu instid0(VALU_DEP_2)
	v_fma_f64 v[164:165], v[25:26], v[0:1], -v[4:5]
	s_clause 0x1
	scratch_load_b64 v[0:1], off, off offset:264
	scratch_load_b64 v[4:5], off, off offset:272
	v_fma_f64 v[162:163], v[25:26], v[2:3], v[6:7]
	s_clause 0x2
	scratch_load_b64 v[2:3], off, off offset:312
	scratch_load_b64 v[6:7], off, off offset:140
	;; [unrolled: 1-line block ×3, first 2 shown]
	s_waitcnt vmcnt(4)
	v_add_f64 v[0:1], v[13:14], v[0:1]
	s_waitcnt vmcnt(2)
	s_delay_alu instid0(VALU_DEP_1) | instskip(SKIP_3) | instid1(VALU_DEP_1)
	v_add_f64 v[0:1], v[0:1], v[2:3]
	scratch_load_b64 v[2:3], off, off offset:232 ; 8-byte Folded Reload
	s_waitcnt vmcnt(0)
	v_add_f64 v[2:3], v[15:16], v[2:3]
	v_add_f64 v[2:3], v[2:3], v[4:5]
	scratch_load_b64 v[4:5], off, off offset:376 ; 8-byte Folded Reload
	s_waitcnt vmcnt(0)
	v_add_f64 v[0:1], v[0:1], v[4:5]
	scratch_load_b64 v[4:5], off, off offset:360 ; 8-byte Folded Reload
	s_waitcnt vmcnt(0)
	;; [unrolled: 3-line block ×28, first 2 shown]
	v_add_f64 v[2:3], v[2:3], v[4:5]
	v_mul_f64 v[4:5], v[0:1], v[6:7]
	s_delay_alu instid0(VALU_DEP_2) | instskip(NEXT) | instid1(VALU_DEP_2)
	v_mul_f64 v[6:7], v[2:3], v[6:7]
	v_fma_f64 v[67:68], v[2:3], v[25:26], -v[4:5]
	v_fma_f64 v[2:3], v[124:125], s[10:11], -v[148:149]
	v_fma_f64 v[4:5], v[128:129], s[10:11], v[174:175]
	s_delay_alu instid0(VALU_DEP_4)
	v_fma_f64 v[65:66], v[0:1], v[25:26], v[6:7]
	v_fma_f64 v[0:1], v[122:123], s[16:17], -v[170:171]
	s_clause 0x1
	scratch_load_b64 v[6:7], off, off offset:156
	scratch_load_b64 v[25:26], off, off offset:148
	v_add_f64 v[0:1], v[15:16], v[0:1]
	s_delay_alu instid0(VALU_DEP_1) | instskip(SKIP_1) | instid1(VALU_DEP_1)
	v_add_f64 v[0:1], v[2:3], v[0:1]
	v_fma_f64 v[2:3], v[130:131], s[14:15], -v[120:121]
	v_add_f64 v[0:1], v[2:3], v[0:1]
	v_fma_f64 v[2:3], v[134:135], s[24:25], -v[110:111]
	s_delay_alu instid0(VALU_DEP_1) | instskip(SKIP_1) | instid1(VALU_DEP_1)
	v_add_f64 v[0:1], v[2:3], v[0:1]
	v_fma_f64 v[2:3], v[138:139], s[18:19], -v[102:103]
	v_add_f64 v[0:1], v[2:3], v[0:1]
	v_fma_f64 v[2:3], v[144:145], s[12:13], -v[100:101]
	s_delay_alu instid0(VALU_DEP_1) | instskip(SKIP_1) | instid1(VALU_DEP_1)
	v_add_f64 v[0:1], v[2:3], v[0:1]
	v_fma_f64 v[2:3], v[152:153], s[0:1], -v[98:99]
	v_add_f64 v[0:1], v[2:3], v[0:1]
	v_fma_f64 v[2:3], v[126:127], s[16:17], v[176:177]
	s_delay_alu instid0(VALU_DEP_1) | instskip(NEXT) | instid1(VALU_DEP_1)
	v_add_f64 v[2:3], v[13:14], v[2:3]
	v_add_f64 v[2:3], v[4:5], v[2:3]
	v_fma_f64 v[4:5], v[132:133], s[14:15], v[172:173]
	s_delay_alu instid0(VALU_DEP_1) | instskip(SKIP_1) | instid1(VALU_DEP_1)
	v_add_f64 v[2:3], v[4:5], v[2:3]
	v_fma_f64 v[4:5], v[136:137], s[24:25], v[158:159]
	v_add_f64 v[2:3], v[4:5], v[2:3]
	v_fma_f64 v[4:5], v[146:147], s[18:19], v[140:141]
	s_delay_alu instid0(VALU_DEP_1) | instskip(SKIP_1) | instid1(VALU_DEP_1)
	v_add_f64 v[2:3], v[4:5], v[2:3]
	v_fma_f64 v[4:5], v[150:151], s[12:13], v[118:119]
	;; [unrolled: 5-line block ×3, first 2 shown]
	v_add_f64 v[2:3], v[4:5], v[2:3]
	v_fma_f64 v[4:5], v[160:161], s[22:23], -v[104:105]
	s_delay_alu instid0(VALU_DEP_1) | instskip(SKIP_1) | instid1(VALU_DEP_3)
	v_add_f64 v[0:1], v[4:5], v[0:1]
	s_waitcnt vmcnt(1)
	v_mul_f64 v[4:5], v[2:3], v[6:7]
	s_delay_alu instid0(VALU_DEP_2) | instskip(SKIP_1) | instid1(VALU_DEP_2)
	v_mul_f64 v[6:7], v[0:1], v[6:7]
	s_waitcnt vmcnt(0)
	v_fma_f64 v[71:72], v[0:1], v[25:26], -v[4:5]
	v_fma_f64 v[0:1], v[122:123], s[12:13], -v[240:241]
	v_fma_f64 v[4:5], v[128:129], s[18:19], v[236:237]
	s_delay_alu instid0(VALU_DEP_4) | instskip(SKIP_1) | instid1(VALU_DEP_4)
	v_fma_f64 v[69:70], v[2:3], v[25:26], v[6:7]
	v_fma_f64 v[2:3], v[124:125], s[18:19], -v[242:243]
	v_add_f64 v[0:1], v[15:16], v[0:1]
	s_clause 0x1
	scratch_load_b64 v[6:7], off, off offset:124
	scratch_load_b64 v[25:26], off, off offset:116
	v_add_f64 v[0:1], v[2:3], v[0:1]
	v_fma_f64 v[2:3], v[130:131], s[16:17], -v[248:249]
	s_delay_alu instid0(VALU_DEP_1) | instskip(SKIP_1) | instid1(VALU_DEP_1)
	v_add_f64 v[0:1], v[2:3], v[0:1]
	v_fma_f64 v[2:3], v[134:135], s[0:1], -v[254:255]
	v_add_f64 v[0:1], v[2:3], v[0:1]
	v_fma_f64 v[2:3], v[138:139], s[24:25], -v[218:219]
	s_delay_alu instid0(VALU_DEP_1) | instskip(SKIP_1) | instid1(VALU_DEP_1)
	v_add_f64 v[0:1], v[2:3], v[0:1]
	v_fma_f64 v[2:3], v[144:145], s[10:11], -v[216:217]
	v_add_f64 v[0:1], v[2:3], v[0:1]
	v_fma_f64 v[2:3], v[126:127], s[12:13], v[230:231]
	s_delay_alu instid0(VALU_DEP_1) | instskip(NEXT) | instid1(VALU_DEP_1)
	v_add_f64 v[2:3], v[13:14], v[2:3]
	v_add_f64 v[2:3], v[4:5], v[2:3]
	v_fma_f64 v[4:5], v[132:133], s[16:17], v[238:239]
	s_delay_alu instid0(VALU_DEP_1) | instskip(SKIP_1) | instid1(VALU_DEP_1)
	v_add_f64 v[2:3], v[4:5], v[2:3]
	v_fma_f64 v[4:5], v[136:137], s[0:1], v[244:245]
	v_add_f64 v[2:3], v[4:5], v[2:3]
	v_fma_f64 v[4:5], v[146:147], s[24:25], v[246:247]
	s_delay_alu instid0(VALU_DEP_1) | instskip(SKIP_1) | instid1(VALU_DEP_1)
	v_add_f64 v[2:3], v[4:5], v[2:3]
	v_fma_f64 v[4:5], v[150:151], s[10:11], v[250:251]
	v_add_f64 v[2:3], v[4:5], v[2:3]
	v_fma_f64 v[4:5], v[152:153], s[22:23], -v[252:253]
	s_delay_alu instid0(VALU_DEP_1) | instskip(SKIP_1) | instid1(VALU_DEP_1)
	v_add_f64 v[0:1], v[4:5], v[0:1]
	v_fma_f64 v[4:5], v[154:155], s[22:23], v[224:225]
	v_add_f64 v[2:3], v[4:5], v[2:3]
	v_fma_f64 v[4:5], v[156:157], s[14:15], v[222:223]
	s_delay_alu instid0(VALU_DEP_1) | instskip(SKIP_1) | instid1(VALU_DEP_1)
	v_add_f64 v[4:5], v[4:5], v[2:3]
	v_fma_f64 v[2:3], v[160:161], s[14:15], -v[220:221]
	v_add_f64 v[0:1], v[2:3], v[0:1]
	s_waitcnt vmcnt(1)
	s_delay_alu instid0(VALU_DEP_3) | instskip(NEXT) | instid1(VALU_DEP_2)
	v_mul_f64 v[2:3], v[4:5], v[6:7]
	v_mul_f64 v[6:7], v[0:1], v[6:7]
	s_waitcnt vmcnt(0)
	s_delay_alu instid0(VALU_DEP_2) | instskip(NEXT) | instid1(VALU_DEP_2)
	v_fma_f64 v[2:3], v[0:1], v[25:26], -v[2:3]
	v_fma_f64 v[0:1], v[4:5], v[25:26], v[6:7]
	s_clause 0x2
	scratch_load_b64 v[4:5], off, off offset:248
	scratch_load_b64 v[6:7], off, off offset:304
	;; [unrolled: 1-line block ×3, first 2 shown]
	s_waitcnt vmcnt(1)
	v_fma_f64 v[6:7], v[126:127], s[24:25], v[6:7]
	s_waitcnt vmcnt(0)
	v_fma_f64 v[25:26], v[132:133], s[18:19], v[25:26]
	s_delay_alu instid0(VALU_DEP_2) | instskip(SKIP_2) | instid1(VALU_DEP_1)
	v_add_f64 v[6:7], v[13:14], v[6:7]
	scratch_load_b64 v[12:13], off, off offset:240 ; 8-byte Folded Reload
	v_fma_f64 v[4:5], v[122:123], s[24:25], -v[4:5]
	v_add_f64 v[4:5], v[15:16], v[4:5]
	scratch_load_b64 v[14:15], off, off offset:288 ; 8-byte Folded Reload
	s_waitcnt vmcnt(1)
	v_fma_f64 v[12:13], v[124:125], s[22:23], -v[12:13]
	s_delay_alu instid0(VALU_DEP_1) | instskip(SKIP_3) | instid1(VALU_DEP_1)
	v_add_f64 v[4:5], v[12:13], v[4:5]
	scratch_load_b64 v[12:13], off, off offset:296 ; 8-byte Folded Reload
	s_waitcnt vmcnt(1)
	v_fma_f64 v[14:15], v[128:129], s[22:23], v[14:15]
	v_add_f64 v[6:7], v[14:15], v[6:7]
	scratch_load_b64 v[14:15], off, off offset:352 ; 8-byte Folded Reload
	v_add_f64 v[6:7], v[25:26], v[6:7]
	scratch_load_b64 v[25:26], off, off offset:368 ; 8-byte Folded Reload
	s_waitcnt vmcnt(2)
	v_fma_f64 v[12:13], v[130:131], s[18:19], -v[12:13]
	s_delay_alu instid0(VALU_DEP_1) | instskip(SKIP_3) | instid1(VALU_DEP_1)
	v_add_f64 v[4:5], v[12:13], v[4:5]
	scratch_load_b64 v[12:13], off, off offset:320 ; 8-byte Folded Reload
	s_waitcnt vmcnt(2)
	v_fma_f64 v[14:15], v[136:137], s[16:17], v[14:15]
	v_add_f64 v[6:7], v[14:15], v[6:7]
	scratch_load_b64 v[14:15], off, off offset:336 ; 8-byte Folded Reload
	s_waitcnt vmcnt(2)
	v_fma_f64 v[25:26], v[146:147], s[14:15], v[25:26]
	s_delay_alu instid0(VALU_DEP_1) | instskip(SKIP_3) | instid1(VALU_DEP_1)
	v_add_f64 v[6:7], v[25:26], v[6:7]
	scratch_load_b64 v[25:26], off, off offset:392 ; 8-byte Folded Reload
	s_waitcnt vmcnt(2)
	v_fma_f64 v[12:13], v[134:135], s[16:17], -v[12:13]
	v_add_f64 v[4:5], v[12:13], v[4:5]
	scratch_load_b64 v[12:13], off, off offset:344 ; 8-byte Folded Reload
	s_waitcnt vmcnt(2)
	v_fma_f64 v[14:15], v[144:145], s[0:1], -v[14:15]
	s_waitcnt vmcnt(1)
	v_fma_f64 v[25:26], v[152:153], s[12:13], -v[25:26]
	;; [unrolled: 2-line block ×3, first 2 shown]
	s_delay_alu instid0(VALU_DEP_1)
	v_add_f64 v[4:5], v[12:13], v[4:5]
	scratch_load_b64 v[12:13], off, off offset:400 ; 8-byte Folded Reload
	v_add_f64 v[4:5], v[14:15], v[4:5]
	scratch_load_b64 v[14:15], off, off offset:416 ; 8-byte Folded Reload
	v_add_f64 v[4:5], v[25:26], v[4:5]
	scratch_load_b64 v[25:26], off, off offset:100 ; 8-byte Folded Reload
	s_waitcnt vmcnt(2)
	v_fma_f64 v[12:13], v[150:151], s[0:1], v[12:13]
	s_mul_i32 s0, s62, s20
	s_delay_alu instid0(SALU_CYCLE_1) | instskip(NEXT) | instid1(VALU_DEP_1)
	s_add_i32 s0, s0, s5
	v_add_f64 v[6:7], v[12:13], v[6:7]
	scratch_load_b64 v[12:13], off, off offset:440 ; 8-byte Folded Reload
	v_add_f64 v[6:7], v[27:28], v[6:7]
	s_waitcnt vmcnt(0)
	v_fma_f64 v[12:13], v[160:161], s[10:11], -v[12:13]
	s_delay_alu instid0(VALU_DEP_1) | instskip(SKIP_2) | instid1(VALU_DEP_1)
	v_add_f64 v[4:5], v[12:13], v[4:5]
	scratch_load_b64 v[12:13], off, off offset:108 ; 8-byte Folded Reload
	v_fma_f64 v[14:15], v[156:157], s[10:11], v[14:15]
	v_add_f64 v[14:15], v[14:15], v[6:7]
	s_waitcnt vmcnt(0)
	s_delay_alu instid0(VALU_DEP_1) | instskip(SKIP_1) | instid1(VALU_DEP_2)
	v_mul_f64 v[6:7], v[14:15], v[12:13]
	v_mul_f64 v[12:13], v[4:5], v[12:13]
	v_fma_f64 v[6:7], v[4:5], v[25:26], -v[6:7]
	s_delay_alu instid0(VALU_DEP_2) | instskip(SKIP_3) | instid1(VALU_DEP_1)
	v_fma_f64 v[4:5], v[14:15], v[25:26], v[12:13]
	scratch_load_b32 v12, off, off offset:220 ; 4-byte Folded Reload
	s_waitcnt vmcnt(0)
	v_dual_mov_b32 v13, 0 :: v_dual_and_b32 v12, 0xffff, v12
	v_mul_u32_u24_e32 v12, 0x227, v12
	s_delay_alu instid0(VALU_DEP_1) | instskip(NEXT) | instid1(VALU_DEP_1)
	v_lshrrev_b32_e32 v12, 16, v12
	v_mul_lo_u16 v12, 0x121, v12
	s_delay_alu instid0(VALU_DEP_1) | instskip(NEXT) | instid1(VALU_DEP_1)
	v_and_b32_e32 v12, 0xffff, v12
	v_add_nc_u32_e32 v16, v79, v12
	scratch_load_b32 v12, off, off          ; 4-byte Folded Reload
	v_add_nc_u32_e32 v25, 0x44, v16
	v_add_nc_u32_e32 v26, 0x55, v16
	;; [unrolled: 1-line block ×3, first 2 shown]
	s_delay_alu instid0(VALU_DEP_3) | instskip(NEXT) | instid1(VALU_DEP_3)
	v_mul_lo_u32 v25, s4, v25
	v_mul_lo_u32 v28, s4, v26
	s_waitcnt vmcnt(0)
	v_mul_lo_u32 v27, s6, v12
	v_mul_lo_u32 v12, s4, v16
	s_delay_alu instid0(VALU_DEP_1) | instskip(NEXT) | instid1(VALU_DEP_1)
	v_add3_u32 v12, v27, v12, s0
	v_lshlrev_b64 v[14:15], 4, v[12:13]
	v_add_nc_u32_e32 v12, 17, v16
	s_delay_alu instid0(VALU_DEP_1) | instskip(NEXT) | instid1(VALU_DEP_3)
	v_mul_lo_u32 v12, s4, v12
	v_add_co_u32 v14, vcc_lo, s2, v14
	s_delay_alu instid0(VALU_DEP_4) | instskip(NEXT) | instid1(VALU_DEP_3)
	v_add_co_ci_u32_e32 v15, vcc_lo, s3, v15, vcc_lo
	v_add3_u32 v12, v27, v12, s0
	global_store_b128 v[14:15], v[65:68], off
	v_lshlrev_b64 v[14:15], 4, v[12:13]
	v_add_nc_u32_e32 v12, 34, v16
	s_delay_alu instid0(VALU_DEP_1) | instskip(NEXT) | instid1(VALU_DEP_3)
	v_mul_lo_u32 v12, s4, v12
	v_add_co_u32 v14, vcc_lo, s2, v14
	s_delay_alu instid0(VALU_DEP_4) | instskip(NEXT) | instid1(VALU_DEP_3)
	v_add_co_ci_u32_e32 v15, vcc_lo, s3, v15, vcc_lo
	v_add3_u32 v12, v27, v12, s0
	global_store_b128 v[14:15], v[162:165], off
	;; [unrolled: 9-line block ×3, first 2 shown]
	v_lshlrev_b64 v[14:15], 4, v[12:13]
	v_add3_u32 v12, v27, v25, s0
	s_delay_alu instid0(VALU_DEP_2) | instskip(NEXT) | instid1(VALU_DEP_3)
	v_add_co_u32 v14, vcc_lo, s2, v14
	v_add_co_ci_u32_e32 v15, vcc_lo, s3, v15, vcc_lo
	s_delay_alu instid0(VALU_DEP_3)
	v_lshlrev_b64 v[25:26], 4, v[12:13]
	v_add3_u32 v12, v27, v28, s0
	v_mul_lo_u32 v28, s4, v29
	global_store_b128 v[14:15], v[4:7], off
	v_add_nc_u32_e32 v14, 0x77, v16
	v_add_co_u32 v6, vcc_lo, s2, v25
	v_lshlrev_b64 v[4:5], 4, v[12:13]
	s_delay_alu instid0(VALU_DEP_3) | instskip(SKIP_4) | instid1(VALU_DEP_3)
	v_mul_lo_u32 v25, s4, v14
	v_add3_u32 v12, v27, v28, s0
	v_add_nc_u32_e32 v14, 0x88, v16
	v_add_co_ci_u32_e32 v7, vcc_lo, s3, v26, vcc_lo
	v_add_co_u32 v4, vcc_lo, s2, v4
	v_mul_lo_u32 v26, s4, v14
	v_lshlrev_b64 v[14:15], 4, v[12:13]
	v_add3_u32 v12, v27, v25, s0
	v_add_nc_u32_e32 v25, 0x99, v16
	v_add_co_ci_u32_e32 v5, vcc_lo, s3, v5, vcc_lo
	s_clause 0x1
	global_store_b128 v[6:7], v[0:3], off
	global_store_b128 v[4:5], v[69:72], off
	v_mul_lo_u32 v6, s4, v25
	v_lshlrev_b64 v[0:1], 4, v[12:13]
	v_add3_u32 v12, v27, v26, s0
	v_add_co_u32 v2, vcc_lo, s2, v14
	v_add_nc_u32_e32 v7, 0xaa, v16
	v_add_co_ci_u32_e32 v3, vcc_lo, s3, v15, vcc_lo
	s_delay_alu instid0(VALU_DEP_4) | instskip(SKIP_4) | instid1(VALU_DEP_4)
	v_lshlrev_b64 v[4:5], 4, v[12:13]
	v_add3_u32 v12, v27, v6, s0
	v_add_co_u32 v0, vcc_lo, s2, v0
	v_add_co_ci_u32_e32 v1, vcc_lo, s3, v1, vcc_lo
	v_mul_lo_u32 v14, s4, v7
	v_lshlrev_b64 v[6:7], 4, v[12:13]
	v_add_co_u32 v4, vcc_lo, s2, v4
	v_add_co_ci_u32_e32 v5, vcc_lo, s3, v5, vcc_lo
	s_clause 0x2
	global_store_b128 v[2:3], v[21:24], off
	global_store_b128 v[0:1], v[166:169], off
	;; [unrolled: 1-line block ×3, first 2 shown]
	v_add_co_u32 v2, vcc_lo, s2, v6
	v_add_co_ci_u32_e32 v3, vcc_lo, s3, v7, vcc_lo
	v_add_nc_u32_e32 v15, 0xbb, v16
	v_add3_u32 v12, v27, v14, s0
	v_add_nc_u32_e32 v14, 0xcc, v16
	global_store_b128 v[2:3], v[8:11], off
	scratch_load_b128 v[8:11], off, off offset:84 ; 16-byte Folded Reload
	v_mul_lo_u32 v15, s4, v15
	v_lshlrev_b64 v[0:1], 4, v[12:13]
	v_mul_lo_u32 v14, s4, v14
	v_add_nc_u32_e32 v6, 0xdd, v16
	v_add_nc_u32_e32 v2, 0xff, v16
	s_delay_alu instid0(VALU_DEP_4) | instskip(SKIP_2) | instid1(VALU_DEP_2)
	v_add_co_u32 v0, vcc_lo, s2, v0
	v_add3_u32 v12, v27, v15, s0
	v_add_co_ci_u32_e32 v1, vcc_lo, s3, v1, vcc_lo
	v_lshlrev_b64 v[4:5], 4, v[12:13]
	v_add3_u32 v12, v27, v14, s0
	v_mul_lo_u32 v14, s4, v6
	v_add_nc_u32_e32 v6, 0xee, v16
	global_store_b128 v[0:1], v[113:116], off
	v_add_co_u32 v4, vcc_lo, s2, v4
	v_add_co_ci_u32_e32 v5, vcc_lo, s3, v5, vcc_lo
	v_mul_lo_u32 v15, s4, v6
	v_lshlrev_b64 v[6:7], 4, v[12:13]
	v_add3_u32 v12, v27, v14, s0
	s_delay_alu instid0(VALU_DEP_1) | instskip(NEXT) | instid1(VALU_DEP_4)
	v_lshlrev_b64 v[0:1], 4, v[12:13]
	v_add3_u32 v12, v27, v15, s0
	s_waitcnt vmcnt(0)
	global_store_b128 v[4:5], v[8:11], off
	v_mul_lo_u32 v8, s4, v2
	v_add_nc_u32_e32 v4, 0x110, v16
	v_add_co_u32 v2, vcc_lo, s2, v6
	v_add_co_ci_u32_e32 v3, vcc_lo, s3, v7, vcc_lo
	s_delay_alu instid0(VALU_DEP_3) | instskip(SKIP_4) | instid1(VALU_DEP_3)
	v_mul_lo_u32 v9, s4, v4
	v_lshlrev_b64 v[4:5], 4, v[12:13]
	v_add3_u32 v12, v27, v8, s0
	v_add_co_u32 v0, vcc_lo, s2, v0
	v_add_co_ci_u32_e32 v1, vcc_lo, s3, v1, vcc_lo
	v_lshlrev_b64 v[6:7], 4, v[12:13]
	v_add3_u32 v12, v27, v9, s0
	v_add_co_u32 v4, vcc_lo, s2, v4
	v_add_co_ci_u32_e32 v5, vcc_lo, s3, v5, vcc_lo
	s_delay_alu instid0(VALU_DEP_3)
	v_lshlrev_b64 v[8:9], 4, v[12:13]
	scratch_load_b128 v[10:13], off, off offset:68 ; 16-byte Folded Reload
	v_add_co_u32 v6, vcc_lo, s2, v6
	v_add_co_ci_u32_e32 v7, vcc_lo, s3, v7, vcc_lo
	v_add_co_u32 v8, vcc_lo, s2, v8
	v_add_co_ci_u32_e32 v9, vcc_lo, s3, v9, vcc_lo
	s_waitcnt vmcnt(0)
	global_store_b128 v[2:3], v[10:13], off
	scratch_load_b128 v[10:13], off, off offset:52 ; 16-byte Folded Reload
	s_waitcnt vmcnt(0)
	global_store_b128 v[0:1], v[10:13], off
	scratch_load_b128 v[0:3], off, off offset:36 ; 16-byte Folded Reload
	;; [unrolled: 3-line block ×4, first 2 shown]
	s_waitcnt vmcnt(0)
	global_store_b128 v[8:9], v[0:3], off
.LBB0_48:
	s_endpgm
	.section	.rodata,"a",@progbits
	.p2align	6, 0x0
	.amdhsa_kernel fft_rtc_back_len289_factors_17_17_wgs_119_tpt_17_dp_op_CI_CI_sbcc_twdbase8_3step_dirReg_intrinsicReadWrite
		.amdhsa_group_segment_fixed_size 0
		.amdhsa_private_segment_fixed_size 724
		.amdhsa_kernarg_size 112
		.amdhsa_user_sgpr_count 15
		.amdhsa_user_sgpr_dispatch_ptr 0
		.amdhsa_user_sgpr_queue_ptr 0
		.amdhsa_user_sgpr_kernarg_segment_ptr 1
		.amdhsa_user_sgpr_dispatch_id 0
		.amdhsa_user_sgpr_private_segment_size 0
		.amdhsa_wavefront_size32 1
		.amdhsa_uses_dynamic_stack 0
		.amdhsa_enable_private_segment 1
		.amdhsa_system_sgpr_workgroup_id_x 1
		.amdhsa_system_sgpr_workgroup_id_y 0
		.amdhsa_system_sgpr_workgroup_id_z 0
		.amdhsa_system_sgpr_workgroup_info 0
		.amdhsa_system_vgpr_workitem_id 0
		.amdhsa_next_free_vgpr 256
		.amdhsa_next_free_sgpr 64
		.amdhsa_reserve_vcc 1
		.amdhsa_float_round_mode_32 0
		.amdhsa_float_round_mode_16_64 0
		.amdhsa_float_denorm_mode_32 3
		.amdhsa_float_denorm_mode_16_64 3
		.amdhsa_dx10_clamp 1
		.amdhsa_ieee_mode 1
		.amdhsa_fp16_overflow 0
		.amdhsa_workgroup_processor_mode 1
		.amdhsa_memory_ordered 1
		.amdhsa_forward_progress 0
		.amdhsa_shared_vgpr_count 0
		.amdhsa_exception_fp_ieee_invalid_op 0
		.amdhsa_exception_fp_denorm_src 0
		.amdhsa_exception_fp_ieee_div_zero 0
		.amdhsa_exception_fp_ieee_overflow 0
		.amdhsa_exception_fp_ieee_underflow 0
		.amdhsa_exception_fp_ieee_inexact 0
		.amdhsa_exception_int_div_zero 0
	.end_amdhsa_kernel
	.text
.Lfunc_end0:
	.size	fft_rtc_back_len289_factors_17_17_wgs_119_tpt_17_dp_op_CI_CI_sbcc_twdbase8_3step_dirReg_intrinsicReadWrite, .Lfunc_end0-fft_rtc_back_len289_factors_17_17_wgs_119_tpt_17_dp_op_CI_CI_sbcc_twdbase8_3step_dirReg_intrinsicReadWrite
                                        ; -- End function
	.section	.AMDGPU.csdata,"",@progbits
; Kernel info:
; codeLenInByte = 24076
; NumSgprs: 66
; NumVgprs: 256
; ScratchSize: 724
; MemoryBound: 0
; FloatMode: 240
; IeeeMode: 1
; LDSByteSize: 0 bytes/workgroup (compile time only)
; SGPRBlocks: 8
; VGPRBlocks: 31
; NumSGPRsForWavesPerEU: 66
; NumVGPRsForWavesPerEU: 256
; Occupancy: 5
; WaveLimiterHint : 1
; COMPUTE_PGM_RSRC2:SCRATCH_EN: 1
; COMPUTE_PGM_RSRC2:USER_SGPR: 15
; COMPUTE_PGM_RSRC2:TRAP_HANDLER: 0
; COMPUTE_PGM_RSRC2:TGID_X_EN: 1
; COMPUTE_PGM_RSRC2:TGID_Y_EN: 0
; COMPUTE_PGM_RSRC2:TGID_Z_EN: 0
; COMPUTE_PGM_RSRC2:TIDIG_COMP_CNT: 0
	.text
	.p2alignl 7, 3214868480
	.fill 96, 4, 3214868480
	.type	__hip_cuid_f714b4c2e0121ee6,@object ; @__hip_cuid_f714b4c2e0121ee6
	.section	.bss,"aw",@nobits
	.globl	__hip_cuid_f714b4c2e0121ee6
__hip_cuid_f714b4c2e0121ee6:
	.byte	0                               ; 0x0
	.size	__hip_cuid_f714b4c2e0121ee6, 1

	.ident	"AMD clang version 19.0.0git (https://github.com/RadeonOpenCompute/llvm-project roc-6.4.0 25133 c7fe45cf4b819c5991fe208aaa96edf142730f1d)"
	.section	".note.GNU-stack","",@progbits
	.addrsig
	.addrsig_sym __hip_cuid_f714b4c2e0121ee6
	.amdgpu_metadata
---
amdhsa.kernels:
  - .args:
      - .actual_access:  read_only
        .address_space:  global
        .offset:         0
        .size:           8
        .value_kind:     global_buffer
      - .address_space:  global
        .offset:         8
        .size:           8
        .value_kind:     global_buffer
      - .offset:         16
        .size:           8
        .value_kind:     by_value
      - .actual_access:  read_only
        .address_space:  global
        .offset:         24
        .size:           8
        .value_kind:     global_buffer
      - .actual_access:  read_only
        .address_space:  global
        .offset:         32
        .size:           8
        .value_kind:     global_buffer
      - .actual_access:  read_only
        .address_space:  global
        .offset:         40
        .size:           8
        .value_kind:     global_buffer
      - .offset:         48
        .size:           8
        .value_kind:     by_value
      - .actual_access:  read_only
        .address_space:  global
        .offset:         56
        .size:           8
        .value_kind:     global_buffer
      - .actual_access:  read_only
        .address_space:  global
        .offset:         64
        .size:           8
        .value_kind:     global_buffer
      - .offset:         72
        .size:           4
        .value_kind:     by_value
      - .actual_access:  read_only
        .address_space:  global
        .offset:         80
        .size:           8
        .value_kind:     global_buffer
      - .actual_access:  read_only
        .address_space:  global
        .offset:         88
        .size:           8
        .value_kind:     global_buffer
      - .actual_access:  read_only
        .address_space:  global
        .offset:         96
        .size:           8
        .value_kind:     global_buffer
      - .actual_access:  write_only
        .address_space:  global
        .offset:         104
        .size:           8
        .value_kind:     global_buffer
    .group_segment_fixed_size: 0
    .kernarg_segment_align: 8
    .kernarg_segment_size: 112
    .language:       OpenCL C
    .language_version:
      - 2
      - 0
    .max_flat_workgroup_size: 119
    .name:           fft_rtc_back_len289_factors_17_17_wgs_119_tpt_17_dp_op_CI_CI_sbcc_twdbase8_3step_dirReg_intrinsicReadWrite
    .private_segment_fixed_size: 724
    .sgpr_count:     66
    .sgpr_spill_count: 0
    .symbol:         fft_rtc_back_len289_factors_17_17_wgs_119_tpt_17_dp_op_CI_CI_sbcc_twdbase8_3step_dirReg_intrinsicReadWrite.kd
    .uniform_work_group_size: 1
    .uses_dynamic_stack: false
    .vgpr_count:     256
    .vgpr_spill_count: 221
    .wavefront_size: 32
    .workgroup_processor_mode: 1
amdhsa.target:   amdgcn-amd-amdhsa--gfx1100
amdhsa.version:
  - 1
  - 2
...

	.end_amdgpu_metadata
